;; amdgpu-corpus repo=ROCm/rocFFT kind=compiled arch=gfx950 opt=O3
	.text
	.amdgcn_target "amdgcn-amd-amdhsa--gfx950"
	.amdhsa_code_object_version 6
	.protected	fft_rtc_back_len1782_factors_11_3_3_3_3_2_wgs_99_tpt_99_halfLds_dp_ip_CI_unitstride_sbrr_C2R_dirReg ; -- Begin function fft_rtc_back_len1782_factors_11_3_3_3_3_2_wgs_99_tpt_99_halfLds_dp_ip_CI_unitstride_sbrr_C2R_dirReg
	.globl	fft_rtc_back_len1782_factors_11_3_3_3_3_2_wgs_99_tpt_99_halfLds_dp_ip_CI_unitstride_sbrr_C2R_dirReg
	.p2align	8
	.type	fft_rtc_back_len1782_factors_11_3_3_3_3_2_wgs_99_tpt_99_halfLds_dp_ip_CI_unitstride_sbrr_C2R_dirReg,@function
fft_rtc_back_len1782_factors_11_3_3_3_3_2_wgs_99_tpt_99_halfLds_dp_ip_CI_unitstride_sbrr_C2R_dirReg: ; @fft_rtc_back_len1782_factors_11_3_3_3_3_2_wgs_99_tpt_99_halfLds_dp_ip_CI_unitstride_sbrr_C2R_dirReg
; %bb.0:
	s_load_dwordx2 s[8:9], s[0:1], 0x50
	s_load_dwordx4 s[4:7], s[0:1], 0x0
	s_load_dwordx2 s[10:11], s[0:1], 0x18
	v_mul_u32_u24_e32 v1, 0x296, v0
	v_add_u32_sdwa v6, s2, v1 dst_sel:DWORD dst_unused:UNUSED_PAD src0_sel:DWORD src1_sel:WORD_1
	v_mov_b32_e32 v4, 0
	s_waitcnt lgkmcnt(0)
	v_cmp_lt_u64_e64 s[2:3], s[6:7], 2
	v_mov_b32_e32 v7, v4
	s_and_b64 vcc, exec, s[2:3]
	v_mov_b64_e32 v[2:3], 0
	s_cbranch_vccnz .LBB0_8
; %bb.1:
	s_load_dwordx2 s[2:3], s[0:1], 0x10
	s_add_u32 s12, s10, 8
	s_addc_u32 s13, s11, 0
	s_mov_b64 s[14:15], 1
	v_mov_b64_e32 v[2:3], 0
	s_waitcnt lgkmcnt(0)
	s_add_u32 s16, s2, 8
	s_addc_u32 s17, s3, 0
.LBB0_2:                                ; =>This Inner Loop Header: Depth=1
	s_load_dwordx2 s[18:19], s[16:17], 0x0
                                        ; implicit-def: $vgpr8_vgpr9
	s_waitcnt lgkmcnt(0)
	v_or_b32_e32 v5, s19, v7
	v_cmp_ne_u64_e32 vcc, 0, v[4:5]
	s_and_saveexec_b64 s[2:3], vcc
	s_xor_b64 s[20:21], exec, s[2:3]
	s_cbranch_execz .LBB0_4
; %bb.3:                                ;   in Loop: Header=BB0_2 Depth=1
	v_cvt_f32_u32_e32 v1, s18
	v_cvt_f32_u32_e32 v5, s19
	s_sub_u32 s2, 0, s18
	s_subb_u32 s3, 0, s19
	v_fmac_f32_e32 v1, 0x4f800000, v5
	v_rcp_f32_e32 v1, v1
	s_nop 0
	v_mul_f32_e32 v1, 0x5f7ffffc, v1
	v_mul_f32_e32 v5, 0x2f800000, v1
	v_trunc_f32_e32 v5, v5
	v_fmac_f32_e32 v1, 0xcf800000, v5
	v_cvt_u32_f32_e32 v5, v5
	v_cvt_u32_f32_e32 v1, v1
	v_mul_lo_u32 v8, s2, v5
	v_mul_hi_u32 v10, s2, v1
	v_mul_lo_u32 v9, s3, v1
	v_add_u32_e32 v10, v10, v8
	v_mul_lo_u32 v12, s2, v1
	v_add_u32_e32 v13, v10, v9
	v_mul_hi_u32 v8, v1, v12
	v_mul_hi_u32 v11, v1, v13
	v_mul_lo_u32 v10, v1, v13
	v_mov_b32_e32 v9, v4
	v_lshl_add_u64 v[8:9], v[8:9], 0, v[10:11]
	v_mul_hi_u32 v11, v5, v12
	v_mul_lo_u32 v12, v5, v12
	v_add_co_u32_e32 v8, vcc, v8, v12
	v_mul_hi_u32 v10, v5, v13
	s_nop 0
	v_addc_co_u32_e32 v8, vcc, v9, v11, vcc
	v_mov_b32_e32 v9, v4
	s_nop 0
	v_addc_co_u32_e32 v11, vcc, 0, v10, vcc
	v_mul_lo_u32 v10, v5, v13
	v_lshl_add_u64 v[8:9], v[8:9], 0, v[10:11]
	v_add_co_u32_e32 v1, vcc, v1, v8
	v_mul_lo_u32 v10, s2, v1
	s_nop 0
	v_addc_co_u32_e32 v5, vcc, v5, v9, vcc
	v_mul_lo_u32 v8, s2, v5
	v_mul_hi_u32 v9, s2, v1
	v_add_u32_e32 v8, v9, v8
	v_mul_lo_u32 v9, s3, v1
	v_add_u32_e32 v12, v8, v9
	v_mul_hi_u32 v14, v5, v10
	v_mul_lo_u32 v15, v5, v10
	v_mul_hi_u32 v9, v1, v12
	v_mul_lo_u32 v8, v1, v12
	v_mul_hi_u32 v10, v1, v10
	v_mov_b32_e32 v11, v4
	v_lshl_add_u64 v[8:9], v[10:11], 0, v[8:9]
	v_add_co_u32_e32 v8, vcc, v8, v15
	v_mul_hi_u32 v13, v5, v12
	s_nop 0
	v_addc_co_u32_e32 v8, vcc, v9, v14, vcc
	v_mul_lo_u32 v10, v5, v12
	s_nop 0
	v_addc_co_u32_e32 v11, vcc, 0, v13, vcc
	v_mov_b32_e32 v9, v4
	v_lshl_add_u64 v[8:9], v[8:9], 0, v[10:11]
	v_add_co_u32_e32 v1, vcc, v1, v8
	v_mul_hi_u32 v10, v6, v1
	s_nop 0
	v_addc_co_u32_e32 v5, vcc, v5, v9, vcc
	v_mad_u64_u32 v[8:9], s[2:3], v6, v5, 0
	v_mov_b32_e32 v11, v4
	v_lshl_add_u64 v[8:9], v[10:11], 0, v[8:9]
	v_mad_u64_u32 v[12:13], s[2:3], v7, v1, 0
	v_add_co_u32_e32 v1, vcc, v8, v12
	v_mad_u64_u32 v[10:11], s[2:3], v7, v5, 0
	s_nop 0
	v_addc_co_u32_e32 v8, vcc, v9, v13, vcc
	v_mov_b32_e32 v9, v4
	s_nop 0
	v_addc_co_u32_e32 v11, vcc, 0, v11, vcc
	v_lshl_add_u64 v[8:9], v[8:9], 0, v[10:11]
	v_mul_lo_u32 v1, s19, v8
	v_mul_lo_u32 v5, s18, v9
	v_mad_u64_u32 v[10:11], s[2:3], s18, v8, 0
	v_add3_u32 v1, v11, v5, v1
	v_sub_u32_e32 v5, v7, v1
	v_mov_b32_e32 v11, s19
	v_sub_co_u32_e32 v14, vcc, v6, v10
	v_lshl_add_u64 v[12:13], v[8:9], 0, 1
	s_nop 0
	v_subb_co_u32_e64 v5, s[2:3], v5, v11, vcc
	v_subrev_co_u32_e64 v10, s[2:3], s18, v14
	v_subb_co_u32_e32 v1, vcc, v7, v1, vcc
	s_nop 0
	v_subbrev_co_u32_e64 v5, s[2:3], 0, v5, s[2:3]
	v_cmp_le_u32_e64 s[2:3], s19, v5
	v_cmp_le_u32_e32 vcc, s19, v1
	s_nop 0
	v_cndmask_b32_e64 v11, 0, -1, s[2:3]
	v_cmp_le_u32_e64 s[2:3], s18, v10
	s_nop 1
	v_cndmask_b32_e64 v10, 0, -1, s[2:3]
	v_cmp_eq_u32_e64 s[2:3], s19, v5
	s_nop 1
	v_cndmask_b32_e64 v5, v11, v10, s[2:3]
	v_lshl_add_u64 v[10:11], v[8:9], 0, 2
	v_cmp_ne_u32_e64 s[2:3], 0, v5
	s_nop 1
	v_cndmask_b32_e64 v5, v13, v11, s[2:3]
	v_cndmask_b32_e64 v11, 0, -1, vcc
	v_cmp_le_u32_e32 vcc, s18, v14
	s_nop 1
	v_cndmask_b32_e64 v13, 0, -1, vcc
	v_cmp_eq_u32_e32 vcc, s19, v1
	s_nop 1
	v_cndmask_b32_e32 v1, v11, v13, vcc
	v_cmp_ne_u32_e32 vcc, 0, v1
	v_cndmask_b32_e64 v1, v12, v10, s[2:3]
	s_nop 0
	v_cndmask_b32_e32 v9, v9, v5, vcc
	v_cndmask_b32_e32 v8, v8, v1, vcc
.LBB0_4:                                ;   in Loop: Header=BB0_2 Depth=1
	s_andn2_saveexec_b64 s[2:3], s[20:21]
	s_cbranch_execz .LBB0_6
; %bb.5:                                ;   in Loop: Header=BB0_2 Depth=1
	v_cvt_f32_u32_e32 v1, s18
	s_sub_i32 s20, 0, s18
	v_rcp_iflag_f32_e32 v1, v1
	s_nop 0
	v_mul_f32_e32 v1, 0x4f7ffffe, v1
	v_cvt_u32_f32_e32 v1, v1
	v_mul_lo_u32 v5, s20, v1
	v_mul_hi_u32 v5, v1, v5
	v_add_u32_e32 v1, v1, v5
	v_mul_hi_u32 v1, v6, v1
	v_mul_lo_u32 v5, v1, s18
	v_sub_u32_e32 v5, v6, v5
	v_add_u32_e32 v8, 1, v1
	v_subrev_u32_e32 v9, s18, v5
	v_cmp_le_u32_e32 vcc, s18, v5
	s_nop 1
	v_cndmask_b32_e32 v5, v5, v9, vcc
	v_cndmask_b32_e32 v1, v1, v8, vcc
	v_add_u32_e32 v8, 1, v1
	v_cmp_le_u32_e32 vcc, s18, v5
	v_mov_b32_e32 v9, v4
	s_nop 0
	v_cndmask_b32_e32 v8, v1, v8, vcc
.LBB0_6:                                ;   in Loop: Header=BB0_2 Depth=1
	s_or_b64 exec, exec, s[2:3]
	v_mad_u64_u32 v[10:11], s[2:3], v8, s18, 0
	s_load_dwordx2 s[2:3], s[12:13], 0x0
	v_mul_lo_u32 v1, v9, s18
	v_mul_lo_u32 v5, v8, s19
	v_add3_u32 v1, v11, v5, v1
	v_sub_co_u32_e32 v5, vcc, v6, v10
	s_add_u32 s14, s14, 1
	s_nop 0
	v_subb_co_u32_e32 v1, vcc, v7, v1, vcc
	s_addc_u32 s15, s15, 0
	s_waitcnt lgkmcnt(0)
	v_mul_lo_u32 v1, s2, v1
	v_mul_lo_u32 v6, s3, v5
	v_mad_u64_u32 v[2:3], s[2:3], s2, v5, v[2:3]
	s_add_u32 s12, s12, 8
	v_add3_u32 v3, v6, v3, v1
	s_addc_u32 s13, s13, 0
	v_mov_b64_e32 v[6:7], s[6:7]
	s_add_u32 s16, s16, 8
	v_cmp_ge_u64_e32 vcc, s[14:15], v[6:7]
	s_addc_u32 s17, s17, 0
	s_cbranch_vccnz .LBB0_9
; %bb.7:                                ;   in Loop: Header=BB0_2 Depth=1
	v_mov_b64_e32 v[6:7], v[8:9]
	s_branch .LBB0_2
.LBB0_8:
	v_mov_b64_e32 v[8:9], v[6:7]
.LBB0_9:
	s_lshl_b64 s[2:3], s[6:7], 3
	s_add_u32 s2, s10, s2
	s_addc_u32 s3, s11, s3
	s_load_dwordx2 s[6:7], s[2:3], 0x0
	s_load_dwordx2 s[10:11], s[0:1], 0x20
	s_mov_b32 s2, 0x295fad5
	v_mov_b32_e32 v69, 0
	s_waitcnt lgkmcnt(0)
	v_mul_lo_u32 v1, s6, v9
	v_mul_lo_u32 v4, s7, v8
	v_mad_u64_u32 v[2:3], s[0:1], s6, v8, v[2:3]
	v_add3_u32 v3, v4, v3, v1
	v_mul_hi_u32 v1, v0, s2
	v_mul_u32_u24_e32 v1, 0x63, v1
	v_sub_u32_e32 v68, v0, v1
	v_cmp_gt_u64_e64 s[0:1], s[10:11], v[8:9]
	v_lshl_add_u64 v[64:65], v[2:3], 4, s[8:9]
	v_mov_b32_e32 v66, v68
	s_and_saveexec_b64 s[2:3], s[0:1]
	s_cbranch_execz .LBB0_13
; %bb.10:
	v_lshl_add_u64 v[56:57], v[68:69], 4, v[64:65]
	v_add_co_u32_e32 v24, vcc, 0x1000, v56
	global_load_dwordx4 v[0:3], v[56:57], off
	global_load_dwordx4 v[4:7], v[56:57], off offset:1584
	v_addc_co_u32_e32 v25, vcc, 0, v57, vcc
	v_add_co_u32_e32 v32, vcc, 0x2000, v56
	global_load_dwordx4 v[8:11], v[56:57], off offset:3168
	global_load_dwordx4 v[12:15], v[24:25], off offset:656
	v_addc_co_u32_e32 v33, vcc, 0, v57, vcc
	v_add_co_u32_e32 v48, vcc, 0x3000, v56
	global_load_dwordx4 v[16:19], v[24:25], off offset:2240
	;; [unrolled: 4-line block ×5, first 2 shown]
	global_load_dwordx4 v[44:47], v[58:59], off offset:1040
	s_nop 0
	global_load_dwordx4 v[48:51], v[58:59], off offset:2624
	global_load_dwordx4 v[52:55], v[66:67], off offset:112
	v_addc_co_u32_e32 v79, vcc, 0, v57, vcc
	global_load_dwordx4 v[56:59], v[66:67], off offset:1696
	global_load_dwordx4 v[60:63], v[66:67], off offset:3280
	;; [unrolled: 1-line block ×4, first 2 shown]
	v_lshl_add_u32 v66, v68, 4, 0
	s_movk_i32 s6, 0x62
	v_cmp_eq_u32_e32 vcc, s6, v68
	s_waitcnt vmcnt(17)
	ds_write_b128 v66, v[0:3]
	s_waitcnt vmcnt(16)
	ds_write_b128 v66, v[4:7] offset:1584
	s_waitcnt vmcnt(15)
	ds_write_b128 v66, v[8:11] offset:3168
	;; [unrolled: 2-line block ×17, first 2 shown]
	v_mov_b64_e32 v[0:1], v[68:69]
	s_and_saveexec_b64 s[6:7], vcc
	s_cbranch_execz .LBB0_12
; %bb.11:
	v_add_co_u32_e32 v0, vcc, 0x6000, v64
	v_mov_b32_e32 v4, 0
	s_nop 0
	v_addc_co_u32_e32 v1, vcc, 0, v65, vcc
	global_load_dwordx4 v[0:3], v[0:1], off offset:3936
	v_mov_b32_e32 v68, 0x62
	s_waitcnt vmcnt(0)
	ds_write_b128 v4, v[0:3] offset:28512
	v_mov_b64_e32 v[0:1], 0x62
.LBB0_12:
	s_or_b64 exec, exec, s[6:7]
	v_mov_b32_e32 v66, v68
	v_mov_b64_e32 v[68:69], v[0:1]
.LBB0_13:
	s_or_b64 exec, exec, s[2:3]
	v_lshlrev_b32_e32 v0, 4, v66
	v_add_u32_e32 v118, 0, v0
	s_waitcnt lgkmcnt(0)
	s_barrier
	v_sub_u32_e32 v22, 0, v0
	ds_read_b64 v[0:1], v118
	ds_read_b64 v[2:3], v22 offset:28512
	s_add_u32 s2, s4, 0x6eb0
	s_addc_u32 s3, s5, 0
	v_cmp_ne_u32_e32 vcc, 0, v66
	s_waitcnt lgkmcnt(0)
	v_add_f64 v[12:13], v[0:1], v[2:3]
	v_add_f64 v[14:15], v[0:1], -v[2:3]
	s_and_saveexec_b64 s[6:7], vcc
	s_xor_b64 s[6:7], exec, s[6:7]
	s_cbranch_execz .LBB0_15
; %bb.14:
	v_lshl_add_u64 v[4:5], v[68:69], 4, s[2:3]
	global_load_dwordx4 v[4:7], v[4:5], off
	ds_read_b64 v[8:9], v22 offset:28520
	ds_read_b64 v[10:11], v118 offset:8
	v_add_f64 v[12:13], v[0:1], v[2:3]
	v_add_f64 v[16:17], v[0:1], -v[2:3]
	s_waitcnt lgkmcnt(0)
	v_add_f64 v[18:19], v[8:9], v[10:11]
	v_add_f64 v[2:3], v[10:11], -v[8:9]
	s_waitcnt vmcnt(0)
	v_fma_f64 v[14:15], v[18:19], v[6:7], v[2:3]
	v_fma_f64 v[0:1], -v[16:17], v[6:7], v[12:13]
	v_fma_f64 v[2:3], v[18:19], v[6:7], -v[2:3]
	v_fma_f64 v[8:9], v[16:17], v[6:7], v[12:13]
	v_fmac_f64_e32 v[0:1], v[18:19], v[4:5]
	v_fmac_f64_e32 v[2:3], v[16:17], v[4:5]
	v_fma_f64 v[12:13], -v[18:19], v[4:5], v[8:9]
	v_fmac_f64_e32 v[14:15], v[16:17], v[4:5]
	ds_write_b128 v22, v[0:3] offset:28512
.LBB0_15:
	s_andn2_saveexec_b64 s[6:7], s[6:7]
	s_cbranch_execz .LBB0_17
; %bb.16:
	v_mov_b32_e32 v4, 0
	ds_read_b128 v[0:3], v4 offset:14256
	s_waitcnt lgkmcnt(0)
	v_add_f64 v[0:1], v[0:1], v[0:1]
	v_mul_f64 v[2:3], v[2:3], -2.0
	ds_write_b128 v4, v[0:3] offset:14256
.LBB0_17:
	s_or_b64 exec, exec, s[6:7]
	v_mov_b32_e32 v67, 0
	v_lshl_add_u64 v[20:21], v[66:67], 4, s[2:3]
	global_load_dwordx4 v[4:7], v[20:21], off offset:1584
	v_add_u32_e32 v70, 0xc6, v66
	v_mov_b32_e32 v71, v67
	v_lshl_add_u64 v[0:1], v[70:71], 4, s[2:3]
	global_load_dwordx4 v[16:19], v[0:1], off
	v_add_u32_e32 v74, 0x18c, v66
	v_mov_b32_e32 v75, v67
	v_add_u32_e32 v72, 0x129, v66
	v_mov_b32_e32 v73, v67
	v_lshl_add_u64 v[8:9], v[74:75], 4, s[2:3]
	global_load_dwordx4 v[8:11], v[8:9], off
	v_lshl_add_u64 v[0:1], v[72:73], 4, s[2:3]
	global_load_dwordx4 v[0:3], v[0:1], off
	v_add_u32_e32 v76, 0x1ef, v66
	v_mov_b32_e32 v77, v67
	ds_write_b128 v118, v[12:15]
	v_lshl_add_u64 v[28:29], v[76:77], 4, s[2:3]
	ds_read_b128 v[12:15], v118 offset:1584
	ds_read_b128 v[24:27], v22 offset:26928
	global_load_dwordx4 v[28:31], v[28:29], off
	s_movk_i32 s6, 0x2000
	v_lshl_add_u32 v120, v70, 4, 0
	v_lshl_add_u32 v119, v72, 4, 0
	s_waitcnt lgkmcnt(0)
	v_add_f64 v[32:33], v[12:13], v[24:25]
	v_add_f64 v[34:35], v[26:27], v[14:15]
	v_add_f64 v[36:37], v[12:13], -v[24:25]
	v_add_f64 v[12:13], v[14:15], -v[26:27]
	s_movk_i32 s33, 0x3000
	v_lshl_add_u32 v122, v74, 4, 0
	v_lshl_add_u32 v121, v76, 4, 0
	s_mov_b32 s14, 0xf8bb580b
	s_mov_b32 s20, 0x8eee2c13
	;; [unrolled: 1-line block ×28, first 2 shown]
	s_waitcnt vmcnt(4)
	v_fma_f64 v[38:39], v[36:37], v[6:7], v[32:33]
	v_fma_f64 v[14:15], v[34:35], v[6:7], v[12:13]
	v_fma_f64 v[24:25], -v[36:37], v[6:7], v[32:33]
	v_fma_f64 v[26:27], v[34:35], v[6:7], -v[12:13]
	v_fma_f64 v[12:13], -v[34:35], v[4:5], v[38:39]
	v_fmac_f64_e32 v[14:15], v[36:37], v[4:5]
	v_add_co_u32_e32 v32, vcc, s6, v20
	v_fmac_f64_e32 v[24:25], v[34:35], v[4:5]
	v_fmac_f64_e32 v[26:27], v[36:37], v[4:5]
	ds_write_b128 v118, v[12:15] offset:1584
	ds_write_b128 v22, v[24:27] offset:26928
	v_addc_co_u32_e32 v33, vcc, 0, v21, vcc
	ds_read_b128 v[4:7], v120
	ds_read_b128 v[12:15], v22 offset:25344
	global_load_dwordx4 v[24:27], v[32:33], off offset:1312
	s_mov_b32 s6, 0xd9c712b6
	s_mov_b32 s7, 0x3fda9628
	s_waitcnt lgkmcnt(0)
	v_add_f64 v[34:35], v[4:5], v[12:13]
	v_add_f64 v[36:37], v[14:15], v[6:7]
	v_add_f64 v[38:39], v[4:5], -v[12:13]
	v_add_f64 v[4:5], v[6:7], -v[14:15]
	s_waitcnt vmcnt(4)
	v_fma_f64 v[40:41], v[38:39], v[18:19], v[34:35]
	v_fma_f64 v[6:7], v[36:37], v[18:19], v[4:5]
	v_fma_f64 v[12:13], -v[38:39], v[18:19], v[34:35]
	v_fma_f64 v[14:15], v[36:37], v[18:19], -v[4:5]
	v_fma_f64 v[4:5], -v[36:37], v[16:17], v[40:41]
	v_fmac_f64_e32 v[6:7], v[38:39], v[16:17]
	v_fmac_f64_e32 v[12:13], v[36:37], v[16:17]
	;; [unrolled: 1-line block ×3, first 2 shown]
	ds_write_b128 v120, v[4:7]
	ds_write_b128 v22, v[12:15] offset:25344
	ds_read_b128 v[4:7], v119
	ds_read_b128 v[12:15], v22 offset:23760
	global_load_dwordx4 v[16:19], v[32:33], off offset:2896
	s_waitcnt lgkmcnt(0)
	v_add_f64 v[32:33], v[4:5], v[12:13]
	v_add_f64 v[34:35], v[14:15], v[6:7]
	v_add_f64 v[36:37], v[4:5], -v[12:13]
	v_add_f64 v[6:7], v[6:7], -v[14:15]
	s_waitcnt vmcnt(3)
	v_fma_f64 v[38:39], v[36:37], v[2:3], v[32:33]
	v_fma_f64 v[4:5], v[34:35], v[2:3], v[6:7]
	v_fma_f64 v[12:13], -v[36:37], v[2:3], v[32:33]
	v_fma_f64 v[14:15], v[34:35], v[2:3], -v[6:7]
	v_fma_f64 v[2:3], -v[34:35], v[0:1], v[38:39]
	v_fmac_f64_e32 v[4:5], v[36:37], v[0:1]
	v_fmac_f64_e32 v[12:13], v[34:35], v[0:1]
	;; [unrolled: 1-line block ×3, first 2 shown]
	ds_write_b128 v119, v[2:5]
	ds_write_b128 v22, v[12:15] offset:23760
	v_add_co_u32_e32 v12, vcc, s33, v20
	ds_read_b128 v[0:3], v122
	ds_read_b128 v[4:7], v22 offset:22176
	v_addc_co_u32_e32 v13, vcc, 0, v21, vcc
	global_load_dwordx4 v[12:15], v[12:13], off offset:384
	v_cmp_gt_u32_e32 vcc, 63, v66
	s_waitcnt lgkmcnt(0)
	v_add_f64 v[20:21], v[0:1], v[4:5]
	v_add_f64 v[32:33], v[6:7], v[2:3]
	v_add_f64 v[34:35], v[0:1], -v[4:5]
	v_add_f64 v[0:1], v[2:3], -v[6:7]
	v_fma_f64 v[36:37], v[34:35], v[10:11], v[20:21]
	v_fma_f64 v[2:3], v[32:33], v[10:11], v[0:1]
	v_fma_f64 v[4:5], -v[34:35], v[10:11], v[20:21]
	v_fma_f64 v[6:7], v[32:33], v[10:11], -v[0:1]
	v_fma_f64 v[0:1], -v[32:33], v[8:9], v[36:37]
	v_fmac_f64_e32 v[2:3], v[34:35], v[8:9]
	v_fmac_f64_e32 v[4:5], v[32:33], v[8:9]
	;; [unrolled: 1-line block ×3, first 2 shown]
	ds_write_b128 v122, v[0:3]
	ds_write_b128 v22, v[4:7] offset:22176
	ds_read_b128 v[0:3], v121
	ds_read_b128 v[4:7], v22 offset:20592
	s_waitcnt lgkmcnt(0)
	v_add_f64 v[8:9], v[0:1], v[4:5]
	v_add_f64 v[10:11], v[6:7], v[2:3]
	v_add_f64 v[20:21], v[0:1], -v[4:5]
	v_add_f64 v[0:1], v[2:3], -v[6:7]
	s_waitcnt vmcnt(3)
	v_fma_f64 v[32:33], v[20:21], v[30:31], v[8:9]
	v_fma_f64 v[2:3], v[10:11], v[30:31], v[0:1]
	v_fma_f64 v[4:5], -v[20:21], v[30:31], v[8:9]
	v_fma_f64 v[6:7], v[10:11], v[30:31], -v[0:1]
	v_fma_f64 v[0:1], -v[10:11], v[28:29], v[32:33]
	v_fmac_f64_e32 v[2:3], v[20:21], v[28:29]
	v_fmac_f64_e32 v[4:5], v[10:11], v[28:29]
	v_fmac_f64_e32 v[6:7], v[20:21], v[28:29]
	ds_write_b128 v121, v[0:3]
	ds_write_b128 v22, v[4:7] offset:20592
	ds_read_b128 v[0:3], v118 offset:9504
	ds_read_b128 v[4:7], v22 offset:19008
	s_waitcnt lgkmcnt(0)
	v_add_f64 v[8:9], v[0:1], v[4:5]
	v_add_f64 v[10:11], v[6:7], v[2:3]
	v_add_f64 v[20:21], v[0:1], -v[4:5]
	v_add_f64 v[6:7], v[2:3], -v[6:7]
	s_waitcnt vmcnt(2)
	v_fma_f64 v[0:1], v[20:21], v[26:27], v[8:9]
	v_fma_f64 v[2:3], v[10:11], v[26:27], v[6:7]
	v_fma_f64 v[4:5], -v[20:21], v[26:27], v[8:9]
	v_fma_f64 v[6:7], v[10:11], v[26:27], -v[6:7]
	v_fma_f64 v[0:1], -v[10:11], v[24:25], v[0:1]
	v_fmac_f64_e32 v[2:3], v[20:21], v[24:25]
	v_fmac_f64_e32 v[4:5], v[10:11], v[24:25]
	v_fmac_f64_e32 v[6:7], v[20:21], v[24:25]
	ds_write_b128 v118, v[0:3] offset:9504
	ds_write_b128 v22, v[4:7] offset:19008
	ds_read_b128 v[0:3], v118 offset:11088
	ds_read_b128 v[4:7], v22 offset:17424
	s_waitcnt lgkmcnt(0)
	v_add_f64 v[8:9], v[0:1], v[4:5]
	v_add_f64 v[10:11], v[6:7], v[2:3]
	v_add_f64 v[4:5], v[0:1], -v[4:5]
	v_add_f64 v[6:7], v[2:3], -v[6:7]
	s_waitcnt vmcnt(1)
	v_fma_f64 v[0:1], v[4:5], v[18:19], v[8:9]
	v_fma_f64 v[2:3], v[10:11], v[18:19], v[6:7]
	v_fma_f64 v[0:1], -v[10:11], v[16:17], v[0:1]
	v_fmac_f64_e32 v[2:3], v[4:5], v[16:17]
	ds_write_b128 v118, v[0:3] offset:11088
	v_fma_f64 v[0:1], -v[4:5], v[18:19], v[8:9]
	v_fma_f64 v[2:3], v[10:11], v[18:19], -v[6:7]
	v_fmac_f64_e32 v[0:1], v[10:11], v[16:17]
	v_fmac_f64_e32 v[2:3], v[4:5], v[16:17]
	ds_write_b128 v22, v[0:3] offset:17424
	ds_read_b128 v[0:3], v118 offset:12672
	ds_read_b128 v[4:7], v22 offset:15840
	s_waitcnt lgkmcnt(0)
	v_add_f64 v[8:9], v[0:1], v[4:5]
	v_add_f64 v[10:11], v[6:7], v[2:3]
	v_add_f64 v[4:5], v[0:1], -v[4:5]
	v_add_f64 v[6:7], v[2:3], -v[6:7]
	s_waitcnt vmcnt(0)
	v_fma_f64 v[0:1], v[4:5], v[14:15], v[8:9]
	v_fma_f64 v[2:3], v[10:11], v[14:15], v[6:7]
	v_fma_f64 v[0:1], -v[10:11], v[12:13], v[0:1]
	v_fmac_f64_e32 v[2:3], v[4:5], v[12:13]
	ds_write_b128 v118, v[0:3] offset:12672
	v_fma_f64 v[0:1], -v[4:5], v[14:15], v[8:9]
	v_fma_f64 v[2:3], v[10:11], v[14:15], -v[6:7]
	v_fmac_f64_e32 v[0:1], v[10:11], v[12:13]
	v_fmac_f64_e32 v[2:3], v[4:5], v[12:13]
	ds_write_b128 v22, v[0:3] offset:15840
	s_waitcnt lgkmcnt(0)
	s_barrier
	s_barrier
	ds_read_b128 v[48:51], v118 offset:2592
	ds_read_b128 v[44:47], v118
	ds_read_b128 v[0:3], v118 offset:1584
	ds_read_b128 v[4:7], v118 offset:4176
	;; [unrolled: 1-line block ×5, first 2 shown]
	s_waitcnt lgkmcnt(5)
	v_add_f64 v[12:13], v[44:45], v[48:49]
	v_add_f64 v[14:15], v[46:47], v[50:51]
	s_waitcnt lgkmcnt(2)
	v_add_f64 v[16:17], v[12:13], v[58:59]
	v_add_f64 v[18:19], v[14:15], v[60:61]
	ds_read_b128 v[12:15], v118 offset:9360
	ds_read_b128 v[82:85], v118 offset:10368
	s_waitcnt lgkmcnt(2)
	v_add_f64 v[20:21], v[16:17], v[78:79]
	v_add_f64 v[22:23], v[18:19], v[80:81]
	ds_read_b128 v[16:19], v118 offset:11952
	ds_read_b128 v[86:89], v118 offset:12960
	s_waitcnt lgkmcnt(2)
	v_add_f64 v[24:25], v[20:21], v[82:83]
	v_add_f64 v[26:27], v[22:23], v[84:85]
	ds_read_b128 v[20:23], v118 offset:14544
	ds_read_b128 v[90:93], v118 offset:15552
	ds_read_b128 v[94:97], v118 offset:18144
	s_waitcnt lgkmcnt(3)
	v_add_f64 v[28:29], v[24:25], v[86:87]
	v_add_f64 v[30:31], v[26:27], v[88:89]
	ds_read_b128 v[24:27], v118 offset:17136
	s_waitcnt lgkmcnt(2)
	v_add_f64 v[32:33], v[28:29], v[90:91]
	v_add_f64 v[34:35], v[30:31], v[92:93]
	ds_read_b128 v[28:31], v118 offset:19728
	ds_read_b128 v[98:101], v118 offset:20736
	;; [unrolled: 1-line block ×3, first 2 shown]
	s_waitcnt lgkmcnt(4)
	v_add_f64 v[36:37], v[32:33], v[94:95]
	v_add_f64 v[38:39], v[34:35], v[96:97]
	ds_read_b128 v[106:109], v118 offset:25920
	ds_read_b128 v[32:35], v118 offset:22320
	s_waitcnt lgkmcnt(3)
	v_add_f64 v[42:43], v[38:39], v[100:101]
	v_add_f64 v[40:41], v[36:37], v[98:99]
	s_waitcnt lgkmcnt(2)
	v_add_f64 v[54:55], v[42:43], v[104:105]
	v_add_f64 v[52:53], v[40:41], v[102:103]
	;; [unrolled: 3-line block ×3, first 2 shown]
	v_add_f64 v[108:109], v[50:51], -v[108:109]
	v_add_f64 v[52:53], v[52:53], v[106:107]
	v_add_f64 v[110:111], v[48:49], v[106:107]
	v_add_f64 v[106:107], v[48:49], -v[106:107]
	v_add_f64 v[114:115], v[60:61], v[104:105]
	v_add_f64 v[116:117], v[60:61], -v[104:105]
	v_add_f64 v[60:61], v[78:79], v[98:99]
	v_add_f64 v[124:125], v[80:81], v[100:101]
	v_add_f64 v[62:63], v[78:79], -v[98:99]
	v_add_f64 v[126:127], v[80:81], -v[100:101]
	v_add_f64 v[78:79], v[82:83], v[94:95]
	v_add_f64 v[80:81], v[82:83], -v[94:95]
	v_add_f64 v[50:51], v[86:87], v[90:91]
	v_add_f64 v[48:49], v[86:87], -v[90:91]
	v_mul_f64 v[82:83], v[108:109], s[14:15]
	v_mul_f64 v[86:87], v[108:109], s[20:21]
	v_mul_f64 v[90:91], v[108:109], s[16:17]
	v_mul_f64 v[94:95], v[108:109], s[22:23]
	v_mul_f64 v[98:99], v[108:109], s[18:19]
	v_mul_f64 v[108:109], v[112:113], s[6:7]
	v_add_f64 v[56:57], v[58:59], v[102:103]
	v_add_f64 v[58:59], v[58:59], -v[102:103]
	v_add_f64 v[128:129], v[84:85], v[96:97]
	v_add_f64 v[130:131], v[84:85], -v[96:97]
	;; [unrolled: 2-line block ×3, first 2 shown]
	v_fma_f64 v[84:85], s[2:3], v[110:111], v[82:83]
	v_fma_f64 v[82:83], v[110:111], s[2:3], -v[82:83]
	v_fma_f64 v[88:89], s[6:7], v[110:111], v[86:87]
	v_fma_f64 v[86:87], v[110:111], s[6:7], -v[86:87]
	;; [unrolled: 2-line block ×5, first 2 shown]
	v_mul_f64 v[102:103], v[112:113], s[2:3]
	v_fma_f64 v[110:111], s[30:31], v[106:107], v[108:109]
	v_mul_f64 v[136:137], v[112:113], s[8:9]
	v_mul_f64 v[140:141], v[112:113], s[10:11]
	;; [unrolled: 1-line block ×3, first 2 shown]
	v_fma_f64 v[104:105], s[24:25], v[106:107], v[102:103]
	v_fmac_f64_e32 v[102:103], s[14:15], v[106:107]
	v_fmac_f64_e32 v[108:109], s[20:21], v[106:107]
	v_fma_f64 v[138:139], s[26:27], v[106:107], v[136:137]
	v_fmac_f64_e32 v[136:137], s[16:17], v[106:107]
	v_fma_f64 v[142:143], s[34:35], v[106:107], v[140:141]
	;; [unrolled: 2-line block ×3, first 2 shown]
	v_fmac_f64_e32 v[112:113], s[18:19], v[106:107]
	v_add_f64 v[106:107], v[46:47], v[110:111]
	v_add_f64 v[110:111], v[44:45], v[86:87]
	v_mul_f64 v[86:87], v[116:117], s[20:21]
	v_add_f64 v[84:85], v[44:45], v[84:85]
	v_add_f64 v[82:83], v[44:45], v[82:83]
	;; [unrolled: 1-line block ×9, first 2 shown]
	v_fma_f64 v[44:45], s[6:7], v[56:57], v[86:87]
	v_mul_f64 v[90:91], v[126:127], s[16:17]
	v_add_f64 v[44:45], v[44:45], v[84:85]
	v_mul_f64 v[84:85], v[114:115], s[6:7]
	v_fma_f64 v[92:93], s[8:9], v[60:61], v[90:91]
	v_add_f64 v[104:105], v[46:47], v[104:105]
	v_add_f64 v[102:103], v[46:47], v[102:103]
	v_add_f64 v[108:109], v[46:47], v[108:109]
	v_add_f64 v[138:139], v[46:47], v[138:139]
	v_add_f64 v[136:137], v[46:47], v[136:137]
	v_add_f64 v[142:143], v[46:47], v[142:143]
	v_add_f64 v[140:141], v[46:47], v[140:141]
	v_add_f64 v[144:145], v[46:47], v[144:145]
	v_add_f64 v[158:159], v[46:47], v[112:113]
	v_fma_f64 v[46:47], s[30:31], v[58:59], v[84:85]
	v_add_f64 v[44:45], v[92:93], v[44:45]
	v_mul_f64 v[92:93], v[124:125], s[8:9]
	v_add_f64 v[46:47], v[46:47], v[104:105]
	v_fma_f64 v[94:95], s[26:27], v[62:63], v[92:93]
	v_add_f64 v[46:47], v[94:95], v[46:47]
	v_mul_f64 v[94:95], v[130:131], s[22:23]
	v_fma_f64 v[96:97], s[10:11], v[78:79], v[94:95]
	v_add_f64 v[44:45], v[96:97], v[44:45]
	v_mul_f64 v[96:97], v[128:129], s[10:11]
	v_fma_f64 v[86:87], v[56:57], s[6:7], -v[86:87]
	v_fma_f64 v[98:99], s[34:35], v[80:81], v[96:97]
	v_add_f64 v[82:83], v[86:87], v[82:83]
	v_fma_f64 v[86:87], v[60:61], s[8:9], -v[90:91]
	v_add_f64 v[46:47], v[98:99], v[46:47]
	v_mul_f64 v[98:99], v[134:135], s[18:19]
	v_fmac_f64_e32 v[84:85], s[20:21], v[58:59]
	v_add_f64 v[82:83], v[86:87], v[82:83]
	v_fma_f64 v[86:87], v[78:79], s[10:11], -v[94:95]
	v_add_f64 v[84:85], v[84:85], v[102:103]
	v_fmac_f64_e32 v[92:93], s[16:17], v[62:63]
	v_add_f64 v[82:83], v[86:87], v[82:83]
	v_fma_f64 v[86:87], v[50:51], s[12:13], -v[98:99]
	v_mul_f64 v[90:91], v[116:117], s[22:23]
	v_add_f64 v[84:85], v[92:93], v[84:85]
	v_fmac_f64_e32 v[96:97], s[22:23], v[80:81]
	v_add_f64 v[82:83], v[86:87], v[82:83]
	v_fma_f64 v[86:87], s[10:11], v[56:57], v[90:91]
	v_mul_f64 v[94:95], v[126:127], s[28:29]
	v_add_f64 v[84:85], v[96:97], v[84:85]
	v_add_f64 v[86:87], v[86:87], v[88:89]
	v_mul_f64 v[92:93], v[114:115], s[10:11]
	v_fma_f64 v[96:97], s[12:13], v[60:61], v[94:95]
	v_fma_f64 v[100:101], s[12:13], v[50:51], v[98:99]
	;; [unrolled: 1-line block ×3, first 2 shown]
	v_add_f64 v[86:87], v[96:97], v[86:87]
	v_mul_f64 v[96:97], v[124:125], s[12:13]
	v_add_f64 v[44:45], v[100:101], v[44:45]
	v_mul_f64 v[100:101], v[132:133], s[12:13]
	v_add_f64 v[88:89], v[88:89], v[106:107]
	v_fma_f64 v[98:99], s[18:19], v[62:63], v[96:97]
	v_fma_f64 v[104:105], s[28:29], v[48:49], v[100:101]
	v_fmac_f64_e32 v[100:101], s[18:19], v[48:49]
	v_add_f64 v[88:89], v[98:99], v[88:89]
	v_mul_f64 v[98:99], v[130:131], s[26:27]
	v_add_f64 v[84:85], v[100:101], v[84:85]
	v_fma_f64 v[100:101], s[8:9], v[78:79], v[98:99]
	v_add_f64 v[86:87], v[100:101], v[86:87]
	v_mul_f64 v[100:101], v[128:129], s[8:9]
	v_fma_f64 v[102:103], s[16:17], v[80:81], v[100:101]
	v_fma_f64 v[90:91], v[56:57], s[10:11], -v[90:91]
	v_add_f64 v[88:89], v[102:103], v[88:89]
	v_mul_f64 v[102:103], v[134:135], s[24:25]
	v_add_f64 v[90:91], v[90:91], v[110:111]
	v_fmac_f64_e32 v[92:93], s[22:23], v[58:59]
	v_fma_f64 v[94:95], v[60:61], s[12:13], -v[94:95]
	v_add_f64 v[46:47], v[104:105], v[46:47]
	v_fma_f64 v[104:105], s[2:3], v[50:51], v[102:103]
	v_add_f64 v[92:93], v[92:93], v[108:109]
	v_add_f64 v[90:91], v[94:95], v[90:91]
	v_fmac_f64_e32 v[96:97], s[28:29], v[62:63]
	v_fma_f64 v[94:95], v[78:79], s[8:9], -v[98:99]
	v_add_f64 v[86:87], v[104:105], v[86:87]
	v_mul_f64 v[104:105], v[132:133], s[2:3]
	v_add_f64 v[92:93], v[96:97], v[92:93]
	v_add_f64 v[90:91], v[94:95], v[90:91]
	v_fmac_f64_e32 v[100:101], s[26:27], v[80:81]
	v_fma_f64 v[94:95], v[50:51], s[2:3], -v[102:103]
	v_mul_f64 v[98:99], v[116:117], s[28:29]
	v_fma_f64 v[106:107], s[14:15], v[48:49], v[104:105]
	v_add_f64 v[92:93], v[100:101], v[92:93]
	v_add_f64 v[90:91], v[94:95], v[90:91]
	v_fmac_f64_e32 v[104:105], s[24:25], v[48:49]
	v_fma_f64 v[94:95], s[12:13], v[56:57], v[98:99]
	v_mul_f64 v[102:103], v[126:127], s[30:31]
	v_add_f64 v[92:93], v[104:105], v[92:93]
	v_add_f64 v[94:95], v[94:95], v[146:147]
	v_mul_f64 v[100:101], v[114:115], s[12:13]
	v_fma_f64 v[104:105], s[6:7], v[60:61], v[102:103]
	v_fma_f64 v[96:97], s[18:19], v[58:59], v[100:101]
	v_add_f64 v[94:95], v[104:105], v[94:95]
	v_mul_f64 v[104:105], v[124:125], s[6:7]
	v_add_f64 v[88:89], v[106:107], v[88:89]
	v_add_f64 v[96:97], v[96:97], v[138:139]
	v_fma_f64 v[106:107], s[20:21], v[62:63], v[104:105]
	v_add_f64 v[96:97], v[106:107], v[96:97]
	v_mul_f64 v[106:107], v[130:131], s[14:15]
	v_fma_f64 v[108:109], s[2:3], v[78:79], v[106:107]
	v_add_f64 v[94:95], v[108:109], v[94:95]
	v_mul_f64 v[108:109], v[128:129], s[2:3]
	v_fma_f64 v[110:111], s[24:25], v[80:81], v[108:109]
	v_fma_f64 v[98:99], v[56:57], s[12:13], -v[98:99]
	v_add_f64 v[96:97], v[110:111], v[96:97]
	v_mul_f64 v[110:111], v[134:135], s[22:23]
	v_add_f64 v[98:99], v[98:99], v[148:149]
	v_fmac_f64_e32 v[100:101], s[28:29], v[58:59]
	v_fma_f64 v[102:103], v[60:61], s[6:7], -v[102:103]
	v_fma_f64 v[112:113], s[10:11], v[50:51], v[110:111]
	v_add_f64 v[100:101], v[100:101], v[136:137]
	v_add_f64 v[98:99], v[102:103], v[98:99]
	v_fmac_f64_e32 v[104:105], s[30:31], v[62:63]
	v_fma_f64 v[102:103], v[78:79], s[2:3], -v[106:107]
	v_add_f64 v[94:95], v[112:113], v[94:95]
	v_mul_f64 v[112:113], v[132:133], s[10:11]
	v_add_f64 v[100:101], v[104:105], v[100:101]
	v_add_f64 v[98:99], v[102:103], v[98:99]
	v_fmac_f64_e32 v[108:109], s[14:15], v[80:81]
	v_fma_f64 v[102:103], v[50:51], s[10:11], -v[110:111]
	v_mul_f64 v[106:107], v[116:117], s[26:27]
	v_fma_f64 v[138:139], s[34:35], v[48:49], v[112:113]
	v_add_f64 v[100:101], v[108:109], v[100:101]
	v_add_f64 v[98:99], v[102:103], v[98:99]
	v_fmac_f64_e32 v[112:113], s[22:23], v[48:49]
	v_fma_f64 v[102:103], s[8:9], v[56:57], v[106:107]
	v_mul_f64 v[110:111], v[126:127], s[14:15]
	v_add_f64 v[100:101], v[112:113], v[100:101]
	v_add_f64 v[102:103], v[102:103], v[150:151]
	v_mul_f64 v[108:109], v[114:115], s[8:9]
	v_fma_f64 v[112:113], s[2:3], v[60:61], v[110:111]
	v_fma_f64 v[104:105], s[16:17], v[58:59], v[108:109]
	v_add_f64 v[102:103], v[112:113], v[102:103]
	v_mul_f64 v[112:113], v[124:125], s[2:3]
	v_add_f64 v[104:105], v[104:105], v[142:143]
	v_fma_f64 v[136:137], s[24:25], v[62:63], v[112:113]
	v_add_f64 v[104:105], v[136:137], v[104:105]
	v_mul_f64 v[136:137], v[130:131], s[18:19]
	v_add_f64 v[96:97], v[138:139], v[96:97]
	v_fma_f64 v[138:139], s[12:13], v[78:79], v[136:137]
	v_add_f64 v[102:103], v[138:139], v[102:103]
	v_mul_f64 v[138:139], v[128:129], s[12:13]
	v_fma_f64 v[106:107], v[56:57], s[8:9], -v[106:107]
	v_fma_f64 v[142:143], s[28:29], v[80:81], v[138:139]
	v_add_f64 v[106:107], v[106:107], v[152:153]
	v_fma_f64 v[110:111], v[60:61], s[2:3], -v[110:111]
	v_add_f64 v[104:105], v[142:143], v[104:105]
	v_mul_f64 v[142:143], v[134:135], s[30:31]
	v_add_f64 v[106:107], v[110:111], v[106:107]
	v_fma_f64 v[110:111], v[78:79], s[12:13], -v[136:137]
	v_fmac_f64_e32 v[108:109], s[26:27], v[58:59]
	v_add_f64 v[106:107], v[110:111], v[106:107]
	v_fma_f64 v[110:111], v[50:51], s[6:7], -v[142:143]
	v_mul_f64 v[116:117], v[116:117], s[24:25]
	v_add_f64 v[108:109], v[108:109], v[140:141]
	v_fmac_f64_e32 v[112:113], s[14:15], v[62:63]
	v_add_f64 v[106:107], v[110:111], v[106:107]
	v_fma_f64 v[110:111], s[2:3], v[56:57], v[116:117]
	v_mul_f64 v[114:115], v[114:115], s[2:3]
	v_mul_f64 v[126:127], v[126:127], s[22:23]
	v_add_f64 v[108:109], v[112:113], v[108:109]
	v_add_f64 v[110:111], v[110:111], v[154:155]
	v_fma_f64 v[112:113], s[14:15], v[58:59], v[114:115]
	v_fma_f64 v[136:137], s[10:11], v[60:61], v[126:127]
	v_mul_f64 v[124:125], v[124:125], s[10:11]
	ds_read_b128 v[36:39], v118 offset:24912
	ds_read_b128 v[40:43], v118 offset:27504
	v_add_f64 v[112:113], v[112:113], v[144:145]
	v_add_f64 v[110:111], v[136:137], v[110:111]
	v_fma_f64 v[136:137], s[34:35], v[62:63], v[124:125]
	v_mul_f64 v[130:131], v[130:131], s[30:31]
	v_fma_f64 v[56:57], v[56:57], s[2:3], -v[116:117]
	v_add_f64 v[112:113], v[136:137], v[112:113]
	v_fma_f64 v[136:137], s[6:7], v[78:79], v[130:131]
	v_mul_f64 v[128:129], v[128:129], s[6:7]
	v_add_f64 v[56:57], v[56:57], v[156:157]
	v_fmac_f64_e32 v[114:115], s[24:25], v[58:59]
	v_fma_f64 v[60:61], v[60:61], s[10:11], -v[126:127]
	v_fma_f64 v[146:147], s[6:7], v[50:51], v[142:143]
	v_add_f64 v[110:111], v[136:137], v[110:111]
	v_fma_f64 v[136:137], s[20:21], v[80:81], v[128:129]
	v_mul_f64 v[134:135], v[134:135], s[16:17]
	v_add_f64 v[58:59], v[114:115], v[158:159]
	v_add_f64 v[56:57], v[60:61], v[56:57]
	v_fmac_f64_e32 v[124:125], s[22:23], v[62:63]
	v_fma_f64 v[60:61], v[78:79], s[6:7], -v[130:131]
	v_add_f64 v[102:103], v[146:147], v[102:103]
	v_mul_f64 v[146:147], v[132:133], s[6:7]
	v_fmac_f64_e32 v[138:139], s[18:19], v[80:81]
	v_add_f64 v[112:113], v[136:137], v[112:113]
	v_fma_f64 v[136:137], s[8:9], v[50:51], v[134:135]
	v_mul_f64 v[132:133], v[132:133], s[8:9]
	v_add_f64 v[58:59], v[124:125], v[58:59]
	v_add_f64 v[56:57], v[60:61], v[56:57]
	v_fmac_f64_e32 v[128:129], s[30:31], v[80:81]
	v_fma_f64 v[50:51], v[50:51], s[8:9], -v[134:135]
	s_movk_i32 s34, 0xb0
	v_fma_f64 v[148:149], s[20:21], v[48:49], v[146:147]
	v_add_f64 v[108:109], v[138:139], v[108:109]
	v_fmac_f64_e32 v[146:147], s[30:31], v[48:49]
	v_add_f64 v[110:111], v[136:137], v[110:111]
	v_fma_f64 v[136:137], s[26:27], v[48:49], v[132:133]
	v_add_f64 v[58:59], v[128:129], v[58:59]
	v_fmac_f64_e32 v[132:133], s[16:17], v[48:49]
	v_add_f64 v[48:49], v[50:51], v[56:57]
	v_mad_u32_u24 v56, v66, s34, 0
	v_add_f64 v[104:105], v[148:149], v[104:105]
	v_add_f64 v[108:109], v[146:147], v[108:109]
	;; [unrolled: 1-line block ×4, first 2 shown]
	s_waitcnt lgkmcnt(0)
	s_barrier
	ds_write_b128 v56, v[52:55]
	ds_write_b128 v56, v[44:47] offset:16
	ds_write_b128 v56, v[86:89] offset:32
	;; [unrolled: 1-line block ×10, first 2 shown]
	s_and_saveexec_b64 s[34:35], vcc
	s_cbranch_execz .LBB0_19
; %bb.18:
	v_add_f64 v[112:113], v[4:5], -v[40:41]
	v_add_f64 v[110:111], v[8:9], -v[36:37]
	v_mul_f64 v[60:61], v[112:113], s[18:19]
	v_add_f64 v[88:89], v[6:7], v[42:43]
	v_add_f64 v[106:107], v[12:13], -v[32:33]
	v_mul_f64 v[56:57], v[110:111], s[24:25]
	v_add_f64 v[86:87], v[10:11], v[38:39]
	v_fma_f64 v[62:63], s[12:13], v[88:89], v[60:61]
	v_add_f64 v[116:117], v[6:7], -v[42:43]
	v_fma_f64 v[60:61], v[88:89], s[12:13], -v[60:61]
	v_add_f64 v[102:103], v[16:17], -v[28:29]
	v_mul_f64 v[52:53], v[106:107], s[22:23]
	v_add_f64 v[84:85], v[14:15], v[34:35]
	v_fma_f64 v[58:59], s[2:3], v[86:87], v[56:57]
	v_add_f64 v[114:115], v[10:11], -v[38:39]
	v_add_f64 v[98:99], v[4:5], v[40:41]
	v_mul_f64 v[128:129], v[116:117], s[18:19]
	v_fma_f64 v[56:57], v[86:87], s[2:3], -v[56:57]
	v_add_f64 v[60:61], v[2:3], v[60:61]
	v_add_f64 v[82:83], v[20:21], -v[24:25]
	v_mul_f64 v[50:51], v[102:103], s[30:31]
	v_add_f64 v[80:81], v[18:19], v[30:31]
	v_fma_f64 v[54:55], s[10:11], v[84:85], v[52:53]
	v_add_f64 v[62:63], v[2:3], v[62:63]
	v_add_f64 v[108:109], v[14:15], -v[34:35]
	v_add_f64 v[96:97], v[8:9], v[36:37]
	v_mul_f64 v[124:125], v[114:115], s[24:25]
	v_fma_f64 v[130:131], v[98:99], s[12:13], -v[128:129]
	v_fma_f64 v[52:53], v[84:85], s[10:11], -v[52:53]
	v_add_f64 v[56:57], v[56:57], v[60:61]
	v_mul_f64 v[48:49], v[82:83], s[16:17]
	v_add_f64 v[78:79], v[22:23], v[26:27]
	v_fma_f64 v[46:47], s[6:7], v[80:81], v[50:51]
	v_add_f64 v[58:59], v[58:59], v[62:63]
	v_add_f64 v[104:105], v[18:19], -v[30:31]
	v_add_f64 v[94:95], v[12:13], v[32:33]
	v_mul_f64 v[62:63], v[108:109], s[22:23]
	v_fma_f64 v[126:127], v[96:97], s[2:3], -v[124:125]
	v_add_f64 v[130:131], v[0:1], v[130:131]
	v_fma_f64 v[50:51], v[80:81], s[6:7], -v[50:51]
	v_add_f64 v[52:53], v[52:53], v[56:57]
	v_fma_f64 v[44:45], s[8:9], v[78:79], v[48:49]
	v_add_f64 v[54:55], v[54:55], v[58:59]
	v_add_f64 v[100:101], v[22:23], -v[26:27]
	v_add_f64 v[92:93], v[16:17], v[28:29]
	v_mul_f64 v[58:59], v[104:105], s[30:31]
	v_add_f64 v[126:127], v[126:127], v[130:131]
	v_fma_f64 v[130:131], v[94:95], s[10:11], -v[62:63]
	v_fma_f64 v[48:49], v[78:79], s[8:9], -v[48:49]
	v_add_f64 v[50:51], v[50:51], v[52:53]
	v_fmac_f64_e32 v[128:129], s[12:13], v[98:99]
	v_add_f64 v[46:47], v[46:47], v[54:55]
	v_add_f64 v[90:91], v[20:21], v[24:25]
	v_mul_f64 v[54:55], v[100:101], s[16:17]
	v_add_f64 v[126:127], v[130:131], v[126:127]
	v_fma_f64 v[130:131], v[92:93], s[6:7], -v[58:59]
	v_add_f64 v[50:51], v[48:49], v[50:51]
	v_fmac_f64_e32 v[124:125], s[2:3], v[96:97]
	v_add_f64 v[48:49], v[0:1], v[128:129]
	v_add_f64 v[46:47], v[44:45], v[46:47]
	v_fma_f64 v[44:45], v[90:91], s[8:9], -v[54:55]
	v_add_f64 v[126:127], v[130:131], v[126:127]
	v_fmac_f64_e32 v[62:63], s[10:11], v[94:95]
	v_add_f64 v[48:49], v[124:125], v[48:49]
	v_mul_f64 v[124:125], v[112:113], s[22:23]
	v_add_f64 v[44:45], v[44:45], v[126:127]
	v_fmac_f64_e32 v[58:59], s[6:7], v[92:93]
	v_add_f64 v[48:49], v[62:63], v[48:49]
	v_mul_f64 v[60:61], v[110:111], s[26:27]
	v_fma_f64 v[126:127], s[10:11], v[88:89], v[124:125]
	v_fmac_f64_e32 v[54:55], s[8:9], v[90:91]
	v_add_f64 v[48:49], v[58:59], v[48:49]
	v_mul_f64 v[58:59], v[106:107], s[14:15]
	v_fma_f64 v[62:63], s[8:9], v[86:87], v[60:61]
	v_add_f64 v[126:127], v[2:3], v[126:127]
	v_add_f64 v[48:49], v[54:55], v[48:49]
	v_mul_f64 v[56:57], v[102:103], s[18:19]
	v_fma_f64 v[54:55], s[2:3], v[84:85], v[58:59]
	v_add_f64 v[62:63], v[62:63], v[126:127]
	v_mul_f64 v[130:131], v[116:117], s[22:23]
	v_fma_f64 v[124:125], v[88:89], s[10:11], -v[124:125]
	v_fma_f64 v[52:53], s[12:13], v[80:81], v[56:57]
	v_add_f64 v[54:55], v[54:55], v[62:63]
	v_mul_f64 v[128:129], v[114:115], s[26:27]
	v_fma_f64 v[132:133], v[98:99], s[10:11], -v[130:131]
	v_fma_f64 v[60:61], v[86:87], s[8:9], -v[60:61]
	v_add_f64 v[124:125], v[2:3], v[124:125]
	v_add_f64 v[52:53], v[52:53], v[54:55]
	v_mul_f64 v[126:127], v[108:109], s[14:15]
	v_fma_f64 v[54:55], v[96:97], s[8:9], -v[128:129]
	v_add_f64 v[132:133], v[0:1], v[132:133]
	v_add_f64 v[60:61], v[60:61], v[124:125]
	v_fma_f64 v[58:59], v[84:85], s[2:3], -v[58:59]
	v_mul_f64 v[62:63], v[104:105], s[18:19]
	v_add_f64 v[54:55], v[54:55], v[132:133]
	v_fma_f64 v[132:133], v[94:95], s[2:3], -v[126:127]
	v_mul_f64 v[134:135], v[82:83], s[30:31]
	v_fma_f64 v[56:57], v[80:81], s[12:13], -v[56:57]
	v_add_f64 v[58:59], v[58:59], v[60:61]
	v_add_f64 v[54:55], v[132:133], v[54:55]
	v_fma_f64 v[132:133], v[92:93], s[12:13], -v[62:63]
	v_fma_f64 v[124:125], v[78:79], s[6:7], -v[134:135]
	v_add_f64 v[56:57], v[56:57], v[58:59]
	v_fmac_f64_e32 v[130:131], s[10:11], v[98:99]
	v_add_f64 v[132:133], v[132:133], v[54:55]
	v_fma_f64 v[54:55], s[6:7], v[78:79], v[134:135]
	v_mul_f64 v[136:137], v[100:101], s[30:31]
	v_add_f64 v[58:59], v[124:125], v[56:57]
	v_fmac_f64_e32 v[128:129], s[8:9], v[96:97]
	v_add_f64 v[56:57], v[0:1], v[130:131]
	v_add_f64 v[54:55], v[54:55], v[52:53]
	v_fma_f64 v[52:53], v[90:91], s[6:7], -v[136:137]
	v_fmac_f64_e32 v[126:127], s[2:3], v[94:95]
	v_add_f64 v[56:57], v[128:129], v[56:57]
	v_mul_f64 v[130:131], v[112:113], s[16:17]
	v_add_f64 v[52:53], v[52:53], v[132:133]
	v_fmac_f64_e32 v[62:63], s[12:13], v[92:93]
	v_add_f64 v[56:57], v[126:127], v[56:57]
	v_mul_f64 v[128:129], v[110:111], s[28:29]
	v_fma_f64 v[132:133], s[8:9], v[88:89], v[130:131]
	v_add_f64 v[56:57], v[62:63], v[56:57]
	v_mul_f64 v[126:127], v[106:107], s[30:31]
	v_fma_f64 v[62:63], s[12:13], v[86:87], v[128:129]
	v_add_f64 v[132:133], v[2:3], v[132:133]
	v_mul_f64 v[124:125], v[102:103], s[14:15]
	v_add_f64 v[62:63], v[62:63], v[132:133]
	v_fma_f64 v[132:133], s[6:7], v[84:85], v[126:127]
	v_fma_f64 v[60:61], s[2:3], v[80:81], v[124:125]
	v_add_f64 v[62:63], v[132:133], v[62:63]
	v_mul_f64 v[132:133], v[116:117], s[16:17]
	v_fma_f64 v[130:131], v[88:89], s[8:9], -v[130:131]
	v_fmac_f64_e32 v[136:137], s[6:7], v[90:91]
	v_add_f64 v[60:61], v[60:61], v[62:63]
	v_fma_f64 v[62:63], v[98:99], s[8:9], -v[132:133]
	v_mul_f64 v[134:135], v[114:115], s[28:29]
	v_fma_f64 v[128:129], v[86:87], s[12:13], -v[128:129]
	v_add_f64 v[130:131], v[2:3], v[130:131]
	v_add_f64 v[56:57], v[136:137], v[56:57]
	;; [unrolled: 1-line block ×3, first 2 shown]
	v_fma_f64 v[136:137], v[96:97], s[12:13], -v[134:135]
	v_add_f64 v[128:129], v[128:129], v[130:131]
	v_fma_f64 v[126:127], v[84:85], s[6:7], -v[126:127]
	v_add_f64 v[62:63], v[136:137], v[62:63]
	v_mul_f64 v[136:137], v[108:109], s[30:31]
	v_add_f64 v[126:127], v[126:127], v[128:129]
	v_fma_f64 v[124:125], v[80:81], s[2:3], -v[124:125]
	v_fmac_f64_e32 v[132:133], s[8:9], v[98:99]
	v_fma_f64 v[138:139], v[94:95], s[6:7], -v[136:137]
	v_add_f64 v[124:125], v[124:125], v[126:127]
	v_fmac_f64_e32 v[134:135], s[12:13], v[96:97]
	v_add_f64 v[126:127], v[0:1], v[132:133]
	v_add_f64 v[62:63], v[138:139], v[62:63]
	v_mul_f64 v[138:139], v[104:105], s[14:15]
	v_mul_f64 v[142:143], v[82:83], s[22:23]
	v_add_f64 v[126:127], v[134:135], v[126:127]
	v_fmac_f64_e32 v[136:137], s[6:7], v[94:95]
	v_fma_f64 v[140:141], v[92:93], s[2:3], -v[138:139]
	v_add_f64 v[128:129], v[136:137], v[126:127]
	v_fma_f64 v[126:127], v[78:79], s[10:11], -v[142:143]
	v_fmac_f64_e32 v[138:139], s[2:3], v[92:93]
	v_mul_f64 v[134:135], v[112:113], s[20:21]
	v_add_f64 v[126:127], v[126:127], v[124:125]
	v_add_f64 v[124:125], v[138:139], v[128:129]
	v_mul_f64 v[132:133], v[110:111], s[22:23]
	v_fma_f64 v[128:129], s[6:7], v[88:89], v[134:135]
	v_add_f64 v[140:141], v[140:141], v[62:63]
	v_fma_f64 v[62:63], s[10:11], v[78:79], v[142:143]
	v_mul_f64 v[144:145], v[100:101], s[22:23]
	v_add_f64 v[128:129], v[2:3], v[128:129]
	v_fma_f64 v[130:131], s[10:11], v[86:87], v[132:133]
	v_mul_f64 v[136:137], v[106:107], s[28:29]
	v_add_f64 v[62:63], v[62:63], v[60:61]
	v_fma_f64 v[60:61], v[90:91], s[10:11], -v[144:145]
	v_add_f64 v[128:129], v[130:131], v[128:129]
	v_fma_f64 v[130:131], s[12:13], v[84:85], v[136:137]
	v_mul_f64 v[138:139], v[102:103], s[26:27]
	v_add_f64 v[60:61], v[60:61], v[140:141]
	v_add_f64 v[128:129], v[130:131], v[128:129]
	v_fma_f64 v[130:131], s[8:9], v[80:81], v[138:139]
	v_mul_f64 v[140:141], v[116:117], s[20:21]
	v_fmac_f64_e32 v[144:145], s[10:11], v[90:91]
	v_add_f64 v[128:129], v[130:131], v[128:129]
	v_fma_f64 v[130:131], v[98:99], s[6:7], -v[140:141]
	v_mul_f64 v[142:143], v[114:115], s[22:23]
	v_fma_f64 v[134:135], v[88:89], s[6:7], -v[134:135]
	v_add_f64 v[124:125], v[144:145], v[124:125]
	v_add_f64 v[130:131], v[0:1], v[130:131]
	v_fma_f64 v[144:145], v[96:97], s[10:11], -v[142:143]
	v_fma_f64 v[132:133], v[86:87], s[10:11], -v[132:133]
	v_add_f64 v[134:135], v[2:3], v[134:135]
	v_add_f64 v[130:131], v[144:145], v[130:131]
	v_mul_f64 v[144:145], v[108:109], s[28:29]
	v_add_f64 v[132:133], v[132:133], v[134:135]
	v_fma_f64 v[134:135], v[84:85], s[12:13], -v[136:137]
	v_fma_f64 v[146:147], v[94:95], s[12:13], -v[144:145]
	v_add_f64 v[132:133], v[134:135], v[132:133]
	v_fma_f64 v[134:135], v[80:81], s[8:9], -v[138:139]
	v_fmac_f64_e32 v[140:141], s[6:7], v[98:99]
	v_add_f64 v[130:131], v[146:147], v[130:131]
	v_mul_f64 v[146:147], v[104:105], s[26:27]
	v_add_f64 v[132:133], v[134:135], v[132:133]
	v_fmac_f64_e32 v[142:143], s[10:11], v[96:97]
	v_add_f64 v[134:135], v[0:1], v[140:141]
	v_fma_f64 v[148:149], v[92:93], s[8:9], -v[146:147]
	v_mul_f64 v[150:151], v[82:83], s[24:25]
	v_add_f64 v[134:135], v[142:143], v[134:135]
	v_fmac_f64_e32 v[144:145], s[12:13], v[94:95]
	v_add_f64 v[148:149], v[148:149], v[130:131]
	v_fma_f64 v[130:131], s[2:3], v[78:79], v[150:151]
	v_mul_f64 v[152:153], v[100:101], s[24:25]
	v_add_f64 v[134:135], v[144:145], v[134:135]
	v_fmac_f64_e32 v[146:147], s[8:9], v[92:93]
	v_add_f64 v[130:131], v[130:131], v[128:129]
	v_fma_f64 v[128:129], v[90:91], s[2:3], -v[152:153]
	v_add_f64 v[136:137], v[146:147], v[134:135]
	v_fma_f64 v[134:135], v[78:79], s[2:3], -v[150:151]
	v_fmac_f64_e32 v[152:153], s[2:3], v[90:91]
	v_mul_f64 v[112:113], v[112:113], s[14:15]
	v_add_f64 v[134:135], v[134:135], v[132:133]
	v_add_f64 v[132:133], v[152:153], v[136:137]
	v_mul_f64 v[110:111], v[110:111], s[20:21]
	v_fma_f64 v[136:137], s[2:3], v[88:89], v[112:113]
	v_add_f64 v[136:137], v[2:3], v[136:137]
	v_fma_f64 v[138:139], s[6:7], v[86:87], v[110:111]
	v_mul_f64 v[106:107], v[106:107], s[16:17]
	v_add_f64 v[136:137], v[138:139], v[136:137]
	v_fma_f64 v[138:139], s[8:9], v[84:85], v[106:107]
	v_add_f64 v[136:137], v[138:139], v[136:137]
	v_mul_f64 v[138:139], v[102:103], s[22:23]
	v_fma_f64 v[102:103], s[10:11], v[80:81], v[138:139]
	v_mul_f64 v[116:117], v[116:117], s[14:15]
	v_add_f64 v[102:103], v[102:103], v[136:137]
	v_mul_f64 v[114:115], v[114:115], s[20:21]
	v_fma_f64 v[136:137], v[98:99], s[2:3], -v[116:117]
	v_add_f64 v[136:137], v[0:1], v[136:137]
	v_fma_f64 v[140:141], v[96:97], s[6:7], -v[114:115]
	v_mul_f64 v[108:109], v[108:109], s[16:17]
	v_add_f64 v[136:137], v[140:141], v[136:137]
	v_fma_f64 v[140:141], v[94:95], s[8:9], -v[108:109]
	v_mul_f64 v[104:105], v[104:105], s[22:23]
	;; [unrolled: 3-line block ×3, first 2 shown]
	v_add_f64 v[136:137], v[140:141], v[136:137]
	v_fma_f64 v[140:141], s[12:13], v[78:79], v[82:83]
	v_fma_f64 v[78:79], v[78:79], s[12:13], -v[82:83]
	v_fma_f64 v[82:83], v[84:85], s[8:9], -v[106:107]
	;; [unrolled: 1-line block ×4, first 2 shown]
	v_add_f64 v[86:87], v[2:3], v[86:87]
	v_add_f64 v[84:85], v[84:85], v[86:87]
	v_fma_f64 v[80:81], v[80:81], s[10:11], -v[138:139]
	v_add_f64 v[82:83], v[82:83], v[84:85]
	v_add_f64 v[80:81], v[80:81], v[82:83]
	v_fmac_f64_e32 v[116:117], s[2:3], v[98:99]
	v_add_f64 v[80:81], v[78:79], v[80:81]
	v_add_f64 v[78:79], v[0:1], v[116:117]
	;; [unrolled: 1-line block ×14, first 2 shown]
	v_fmac_f64_e32 v[114:115], s[6:7], v[96:97]
	v_add_f64 v[2:3], v[2:3], v[30:31]
	v_add_f64 v[0:1], v[0:1], v[28:29]
	v_fmac_f64_e32 v[108:109], s[8:9], v[94:95]
	v_add_f64 v[78:79], v[114:115], v[78:79]
	v_add_f64 v[2:3], v[2:3], v[34:35]
	;; [unrolled: 1-line block ×4, first 2 shown]
	v_mul_f64 v[140:141], v[100:101], s[18:19]
	v_mul_u32_u24_e32 v106, 0xb0, v66
	v_fmac_f64_e32 v[104:105], s[10:11], v[92:93]
	v_add_f64 v[78:79], v[108:109], v[78:79]
	v_add_f64 v[2:3], v[2:3], v[38:39]
	;; [unrolled: 1-line block ×3, first 2 shown]
	v_fma_f64 v[100:101], v[90:91], s[12:13], -v[140:141]
	v_fmac_f64_e32 v[140:141], s[12:13], v[90:91]
	v_add_f64 v[78:79], v[104:105], v[78:79]
	v_add_f64 v[2:3], v[2:3], v[42:43]
	;; [unrolled: 1-line block ×3, first 2 shown]
	v_add_u32_e32 v4, 0, v106
	v_add_f64 v[128:129], v[128:129], v[148:149]
	v_add_f64 v[100:101], v[100:101], v[136:137]
	;; [unrolled: 1-line block ×3, first 2 shown]
	ds_write_b128 v4, v[0:3] offset:17424
	ds_write_b128 v4, v[78:81] offset:17440
	;; [unrolled: 1-line block ×11, first 2 shown]
.LBB0_19:
	s_or_b64 exec, exec, s[34:35]
	s_movk_i32 s2, 0x75
	v_mul_lo_u16_sdwa v0, v66, s2 dst_sel:DWORD dst_unused:UNUSED_PAD src0_sel:BYTE_0 src1_sel:DWORD
	v_sub_u16_sdwa v1, v66, v0 dst_sel:DWORD dst_unused:UNUSED_PAD src0_sel:DWORD src1_sel:BYTE_1
	v_lshrrev_b16_e32 v1, 1, v1
	v_and_b32_e32 v1, 0x7f, v1
	v_add_u16_sdwa v0, v1, v0 dst_sel:DWORD dst_unused:UNUSED_PAD src0_sel:DWORD src1_sel:BYTE_1
	v_lshrrev_b16_e32 v25, 3, v0
	v_mul_lo_u16_e32 v0, 11, v25
	v_sub_u16_e32 v27, v66, v0
	v_mov_b32_e32 v24, 5
	v_add_u32_e32 v26, 0x63, v66
	v_lshlrev_b32_sdwa v0, v24, v27 dst_sel:DWORD dst_unused:UNUSED_PAD src0_sel:DWORD src1_sel:BYTE_0
	s_waitcnt lgkmcnt(0)
	s_barrier
	global_load_dwordx4 v[28:31], v0, s[4:5] offset:16
	global_load_dwordx4 v[32:35], v0, s[4:5]
	v_mul_lo_u16_sdwa v0, v26, s2 dst_sel:DWORD dst_unused:UNUSED_PAD src0_sel:BYTE_0 src1_sel:DWORD
	v_sub_u16_sdwa v1, v26, v0 dst_sel:DWORD dst_unused:UNUSED_PAD src0_sel:DWORD src1_sel:BYTE_1
	v_lshrrev_b16_e32 v1, 1, v1
	v_and_b32_e32 v1, 0x7f, v1
	s_mov_b32 s2, 0xba2f
	v_add_u16_sdwa v0, v1, v0 dst_sel:DWORD dst_unused:UNUSED_PAD src0_sel:DWORD src1_sel:BYTE_1
	v_mul_u32_u24_sdwa v1, v70, s2 dst_sel:DWORD dst_unused:UNUSED_PAD src0_sel:WORD_0 src1_sel:DWORD
	v_lshrrev_b32_e32 v123, 19, v1
	v_lshrrev_b16_e32 v153, 3, v0
	v_mul_lo_u16_e32 v1, 11, v123
	v_mul_lo_u16_e32 v0, 11, v153
	v_sub_u16_e32 v152, v70, v1
	v_sub_u16_e32 v154, v26, v0
	v_lshlrev_b32_e32 v1, 5, v152
	v_lshlrev_b32_sdwa v0, v24, v154 dst_sel:DWORD dst_unused:UNUSED_PAD src0_sel:DWORD src1_sel:BYTE_0
	global_load_dwordx4 v[36:39], v1, s[4:5]
	global_load_dwordx4 v[40:43], v0, s[4:5]
	global_load_dwordx4 v[44:47], v0, s[4:5] offset:16
	global_load_dwordx4 v[48:51], v1, s[4:5] offset:16
	v_mul_u32_u24_sdwa v0, v72, s2 dst_sel:DWORD dst_unused:UNUSED_PAD src0_sel:WORD_0 src1_sel:DWORD
	v_lshrrev_b32_e32 v155, 19, v0
	v_mul_lo_u16_e32 v0, 11, v155
	v_sub_u16_e32 v156, v72, v0
	v_lshlrev_b32_e32 v0, 5, v156
	global_load_dwordx4 v[52:55], v0, s[4:5]
	global_load_dwordx4 v[56:59], v0, s[4:5] offset:16
	v_mul_u32_u24_sdwa v0, v74, s2 dst_sel:DWORD dst_unused:UNUSED_PAD src0_sel:WORD_0 src1_sel:DWORD
	v_lshrrev_b32_e32 v157, 19, v0
	v_mul_lo_u16_e32 v0, 11, v157
	v_sub_u16_e32 v158, v74, v0
	v_lshlrev_b32_e32 v0, 5, v158
	global_load_dwordx4 v[60:63], v0, s[4:5]
	;; [unrolled: 7-line block ×3, first 2 shown]
	global_load_dwordx4 v[86:89], v0, s[4:5] offset:16
	ds_read_b128 v[20:23], v118
	ds_read_b128 v[16:19], v118 offset:1584
	ds_read_b128 v[90:93], v118 offset:9504
	;; [unrolled: 1-line block ×5, first 2 shown]
	ds_read_b128 v[12:15], v120
	ds_read_b128 v[8:11], v119
	ds_read_b128 v[106:109], v118 offset:12672
	ds_read_b128 v[110:113], v118 offset:14256
	;; [unrolled: 1-line block ×4, first 2 shown]
	ds_read_b128 v[4:7], v122
	ds_read_b128 v[0:3], v121
	ds_read_b128 v[128:131], v118 offset:15840
	ds_read_b128 v[132:135], v118 offset:17424
	ds_read_b128 v[136:139], v118 offset:25344
	ds_read_b128 v[140:143], v118 offset:26928
	s_mov_b32 s2, 0xe8584caa
	s_mov_b32 s3, 0xbfebb67a
	;; [unrolled: 1-line block ×4, first 2 shown]
	s_waitcnt lgkmcnt(0)
	s_barrier
	s_mov_b32 s8, 0x5040100
	s_movk_i32 s9, 0x210
	s_movk_i32 s10, 0x1000
	s_waitcnt vmcnt(11)
	v_mul_f64 v[148:149], v[100:101], v[30:31]
	s_waitcnt vmcnt(10)
	v_mul_f64 v[146:147], v[92:93], v[34:35]
	v_mul_f64 v[30:31], v[98:99], v[30:31]
	;; [unrolled: 1-line block ×3, first 2 shown]
	v_fmac_f64_e32 v[146:147], v[90:91], v[32:33]
	v_fmac_f64_e32 v[148:149], v[98:99], v[28:29]
	v_fma_f64 v[90:91], v[100:101], v[28:29], -v[30:31]
	v_fma_f64 v[34:35], v[92:93], v[32:33], -v[34:35]
	v_add_f64 v[30:31], v[146:147], v[148:149]
	s_waitcnt vmcnt(8)
	v_mul_f64 v[150:151], v[96:97], v[42:43]
	v_mul_f64 v[28:29], v[106:107], v[38:39]
	;; [unrolled: 1-line block ×3, first 2 shown]
	v_fmac_f64_e32 v[150:151], v[94:95], v[40:41]
	v_fma_f64 v[94:95], v[108:109], v[36:37], -v[28:29]
	s_waitcnt vmcnt(6)
	v_mul_f64 v[28:29], v[114:115], v[50:51]
	v_fma_f64 v[92:93], v[96:97], v[40:41], -v[32:33]
	v_mul_f64 v[96:97], v[116:117], v[50:51]
	v_fma_f64 v[50:51], v[116:117], v[48:49], -v[28:29]
	s_waitcnt vmcnt(5)
	v_mul_f64 v[28:29], v[110:111], v[54:55]
	v_mul_f64 v[42:43], v[104:105], v[46:47]
	v_fma_f64 v[100:101], v[112:113], v[52:53], -v[28:29]
	s_waitcnt vmcnt(4)
	v_mul_f64 v[28:29], v[124:125], v[58:59]
	v_mul_f64 v[144:145], v[108:109], v[38:39]
	;; [unrolled: 1-line block ×3, first 2 shown]
	v_fmac_f64_e32 v[42:43], v[102:103], v[44:45]
	v_mul_f64 v[102:103], v[126:127], v[58:59]
	v_fma_f64 v[58:59], v[126:127], v[56:57], -v[28:29]
	s_waitcnt vmcnt(3)
	v_mul_f64 v[28:29], v[128:129], v[62:63]
	v_fmac_f64_e32 v[144:145], v[106:107], v[36:37]
	v_fma_f64 v[106:107], v[130:131], v[60:61], -v[28:29]
	s_waitcnt vmcnt(2)
	v_mul_f64 v[28:29], v[136:137], v[80:81]
	v_mul_f64 v[108:109], v[138:139], v[80:81]
	v_fma_f64 v[80:81], v[138:139], v[78:79], -v[28:29]
	s_waitcnt vmcnt(1)
	v_mul_f64 v[28:29], v[132:133], v[84:85]
	v_mul_f64 v[98:99], v[112:113], v[54:55]
	v_fma_f64 v[112:113], v[134:135], v[82:83], -v[28:29]
	s_waitcnt vmcnt(0)
	v_mul_f64 v[28:29], v[140:141], v[88:89]
	v_fmac_f64_e32 v[96:97], v[114:115], v[48:49]
	v_mul_f64 v[114:115], v[142:143], v[88:89]
	v_fma_f64 v[88:89], v[142:143], v[86:87], -v[28:29]
	v_add_f64 v[28:29], v[20:21], v[146:147]
	v_fmac_f64_e32 v[20:21], -0.5, v[30:31]
	v_add_f64 v[30:31], v[34:35], -v[90:91]
	v_fma_f64 v[32:33], s[2:3], v[30:31], v[20:21]
	v_fmac_f64_e32 v[20:21], s[6:7], v[30:31]
	v_add_f64 v[30:31], v[22:23], v[34:35]
	v_add_f64 v[34:35], v[34:35], v[90:91]
	v_fma_f64 v[44:45], v[104:105], v[44:45], -v[46:47]
	v_fmac_f64_e32 v[22:23], -0.5, v[34:35]
	v_add_f64 v[36:37], v[146:147], -v[148:149]
	v_add_f64 v[38:39], v[150:151], v[42:43]
	v_fma_f64 v[34:35], s[6:7], v[36:37], v[22:23]
	v_fmac_f64_e32 v[22:23], s[2:3], v[36:37]
	v_add_f64 v[36:37], v[16:17], v[150:151]
	v_fmac_f64_e32 v[16:17], -0.5, v[38:39]
	v_add_f64 v[38:39], v[92:93], -v[44:45]
	v_fma_f64 v[40:41], s[2:3], v[38:39], v[16:17]
	v_fmac_f64_e32 v[16:17], s[6:7], v[38:39]
	v_add_f64 v[38:39], v[18:19], v[92:93]
	v_add_f64 v[38:39], v[38:39], v[44:45]
	;; [unrolled: 1-line block ×3, first 2 shown]
	v_fmac_f64_e32 v[18:19], -0.5, v[44:45]
	v_add_f64 v[44:45], v[150:151], -v[42:43]
	v_add_f64 v[46:47], v[144:145], v[96:97]
	v_add_f64 v[36:37], v[36:37], v[42:43]
	v_fma_f64 v[42:43], s[6:7], v[44:45], v[18:19]
	v_fmac_f64_e32 v[18:19], s[2:3], v[44:45]
	v_add_f64 v[44:45], v[12:13], v[144:145]
	v_fmac_f64_e32 v[12:13], -0.5, v[46:47]
	v_add_f64 v[46:47], v[94:95], -v[50:51]
	v_fma_f64 v[48:49], s[2:3], v[46:47], v[12:13]
	v_fmac_f64_e32 v[12:13], s[6:7], v[46:47]
	v_add_f64 v[46:47], v[14:15], v[94:95]
	v_fmac_f64_e32 v[98:99], v[110:111], v[52:53]
	v_fmac_f64_e32 v[102:103], v[124:125], v[56:57]
	v_add_f64 v[46:47], v[46:47], v[50:51]
	v_add_f64 v[50:51], v[94:95], v[50:51]
	v_fmac_f64_e32 v[14:15], -0.5, v[50:51]
	v_add_f64 v[52:53], v[144:145], -v[96:97]
	v_add_f64 v[54:55], v[98:99], v[102:103]
	v_fma_f64 v[50:51], s[6:7], v[52:53], v[14:15]
	v_fmac_f64_e32 v[14:15], s[2:3], v[52:53]
	v_add_f64 v[52:53], v[8:9], v[98:99]
	v_fmac_f64_e32 v[8:9], -0.5, v[54:55]
	v_add_f64 v[54:55], v[100:101], -v[58:59]
	v_mul_f64 v[104:105], v[130:131], v[62:63]
	v_fma_f64 v[56:57], s[2:3], v[54:55], v[8:9]
	v_fmac_f64_e32 v[8:9], s[6:7], v[54:55]
	v_add_f64 v[54:55], v[10:11], v[100:101]
	v_fmac_f64_e32 v[104:105], v[128:129], v[60:61]
	v_fmac_f64_e32 v[108:109], v[136:137], v[78:79]
	v_add_f64 v[54:55], v[54:55], v[58:59]
	v_add_f64 v[58:59], v[100:101], v[58:59]
	v_fmac_f64_e32 v[10:11], -0.5, v[58:59]
	v_add_f64 v[60:61], v[98:99], -v[102:103]
	v_add_f64 v[62:63], v[104:105], v[108:109]
	v_fma_f64 v[58:59], s[6:7], v[60:61], v[10:11]
	v_fmac_f64_e32 v[10:11], s[2:3], v[60:61]
	v_add_f64 v[60:61], v[4:5], v[104:105]
	v_fmac_f64_e32 v[4:5], -0.5, v[62:63]
	v_add_f64 v[62:63], v[106:107], -v[80:81]
	v_mul_f64 v[110:111], v[134:135], v[84:85]
	v_fma_f64 v[78:79], s[2:3], v[62:63], v[4:5]
	v_fmac_f64_e32 v[4:5], s[6:7], v[62:63]
	v_add_f64 v[62:63], v[6:7], v[106:107]
	v_fmac_f64_e32 v[110:111], v[132:133], v[82:83]
	v_fmac_f64_e32 v[114:115], v[140:141], v[86:87]
	v_add_f64 v[62:63], v[62:63], v[80:81]
	v_add_f64 v[80:81], v[106:107], v[80:81]
	v_fmac_f64_e32 v[6:7], -0.5, v[80:81]
	v_add_f64 v[82:83], v[104:105], -v[108:109]
	v_add_f64 v[84:85], v[110:111], v[114:115]
	v_fma_f64 v[80:81], s[6:7], v[82:83], v[6:7]
	v_fmac_f64_e32 v[6:7], s[2:3], v[82:83]
	v_add_f64 v[82:83], v[0:1], v[110:111]
	v_fmac_f64_e32 v[0:1], -0.5, v[84:85]
	v_add_f64 v[84:85], v[112:113], -v[88:89]
	v_fma_f64 v[86:87], s[2:3], v[84:85], v[0:1]
	v_fmac_f64_e32 v[0:1], s[6:7], v[84:85]
	v_add_f64 v[84:85], v[2:3], v[112:113]
	v_add_f64 v[84:85], v[84:85], v[88:89]
	;; [unrolled: 1-line block ×4, first 2 shown]
	v_fmac_f64_e32 v[2:3], -0.5, v[88:89]
	v_add_f64 v[90:91], v[110:111], -v[114:115]
	v_fma_f64 v[88:89], s[6:7], v[90:91], v[2:3]
	v_fmac_f64_e32 v[2:3], s[2:3], v[90:91]
	v_mul_u32_u24_e32 v90, 0x210, v25
	v_mov_b32_e32 v25, 4
	v_lshlrev_b32_sdwa v27, v25, v27 dst_sel:DWORD dst_unused:UNUSED_PAD src0_sel:DWORD src1_sel:BYTE_0
	v_add_f64 v[28:29], v[28:29], v[148:149]
	v_add3_u32 v27, 0, v90, v27
	ds_write_b128 v27, v[28:31]
	ds_write_b128 v27, v[32:35] offset:176
	ds_write_b128 v27, v[20:23] offset:352
	v_mul_u32_u24_e32 v20, 0x210, v153
	v_lshlrev_b32_sdwa v21, v25, v154 dst_sel:DWORD dst_unused:UNUSED_PAD src0_sel:DWORD src1_sel:BYTE_0
	v_add3_u32 v20, 0, v20, v21
	ds_write_b128 v20, v[36:39]
	ds_write_b128 v20, v[40:43] offset:176
	ds_write_b128 v20, v[16:19] offset:352
	v_perm_b32 v16, v155, v123, s8
	v_pk_mul_lo_u16 v16, v16, s9 op_sel_hi:[1,0]
	v_lshlrev_b32_e32 v18, 4, v152
	v_and_b32_e32 v17, 0xfff0, v16
	v_add_f64 v[44:45], v[44:45], v[96:97]
	v_add3_u32 v17, 0, v17, v18
	ds_write_b128 v17, v[44:47]
	ds_write_b128 v17, v[48:51] offset:176
	ds_write_b128 v17, v[12:15] offset:352
	v_lshrrev_b32_e32 v12, 16, v16
	v_lshlrev_b32_e32 v13, 4, v156
	v_add_f64 v[52:53], v[52:53], v[102:103]
	v_add3_u32 v12, 0, v12, v13
	ds_write_b128 v12, v[52:55]
	ds_write_b128 v12, v[56:59] offset:176
	ds_write_b128 v12, v[8:11] offset:352
	v_mul_u32_u24_e32 v8, 0x210, v157
	v_lshlrev_b32_e32 v9, 4, v158
	v_add_f64 v[60:61], v[60:61], v[108:109]
	v_add3_u32 v8, 0, v8, v9
	ds_write_b128 v8, v[60:63]
	ds_write_b128 v8, v[78:81] offset:176
	ds_write_b128 v8, v[4:7] offset:352
	v_mul_u32_u24_e32 v4, 0x210, v159
	v_lshlrev_b32_e32 v5, 4, v160
	v_add_f64 v[82:83], v[82:83], v[114:115]
	v_add3_u32 v4, 0, v4, v5
	s_movk_i32 s9, 0xf9
	ds_write_b128 v4, v[82:85]
	ds_write_b128 v4, v[86:89] offset:176
	ds_write_b128 v4, v[0:3] offset:352
	v_mul_lo_u16_sdwa v0, v66, s9 dst_sel:DWORD dst_unused:UNUSED_PAD src0_sel:BYTE_0 src1_sel:DWORD
	v_lshrrev_b16_e32 v27, 13, v0
	v_mul_lo_u16_e32 v0, 33, v27
	v_sub_u16_e32 v123, v66, v0
	v_lshlrev_b32_sdwa v0, v24, v123 dst_sel:DWORD dst_unused:UNUSED_PAD src0_sel:DWORD src1_sel:BYTE_0
	s_waitcnt lgkmcnt(0)
	s_barrier
	global_load_dwordx4 v[28:31], v0, s[4:5] offset:352
	global_load_dwordx4 v[32:35], v0, s[4:5] offset:368
	v_mul_lo_u16_sdwa v0, v26, s9 dst_sel:DWORD dst_unused:UNUSED_PAD src0_sel:BYTE_0 src1_sel:DWORD
	v_lshrrev_b16_e32 v146, 13, v0
	v_mul_lo_u16_e32 v0, 33, v146
	v_sub_u16_e32 v147, v26, v0
	v_lshlrev_b32_sdwa v0, v24, v147 dst_sel:DWORD dst_unused:UNUSED_PAD src0_sel:DWORD src1_sel:BYTE_0
	s_mov_b32 s9, 0xf83f
	global_load_dwordx4 v[36:39], v0, s[4:5] offset:352
	global_load_dwordx4 v[40:43], v0, s[4:5] offset:368
	v_mul_u32_u24_sdwa v0, v70, s9 dst_sel:DWORD dst_unused:UNUSED_PAD src0_sel:WORD_0 src1_sel:DWORD
	v_lshrrev_b32_e32 v24, 21, v0
	v_mul_lo_u16_e32 v0, 33, v24
	v_sub_u16_e32 v148, v70, v0
	v_lshlrev_b32_e32 v0, 5, v148
	global_load_dwordx4 v[44:47], v0, s[4:5] offset:352
	global_load_dwordx4 v[48:51], v0, s[4:5] offset:368
	v_mul_u32_u24_sdwa v0, v72, s9 dst_sel:DWORD dst_unused:UNUSED_PAD src0_sel:WORD_0 src1_sel:DWORD
	v_lshrrev_b32_e32 v149, 21, v0
	v_mul_lo_u16_e32 v0, 33, v149
	v_sub_u16_e32 v150, v72, v0
	v_lshlrev_b32_e32 v0, 5, v150
	;; [unrolled: 7-line block ×4, first 2 shown]
	global_load_dwordx4 v[82:85], v0, s[4:5] offset:352
	global_load_dwordx4 v[86:89], v0, s[4:5] offset:368
	ds_read_b128 v[20:23], v118
	ds_read_b128 v[16:19], v118 offset:1584
	ds_read_b128 v[90:93], v118 offset:9504
	;; [unrolled: 1-line block ×5, first 2 shown]
	ds_read_b128 v[12:15], v120
	ds_read_b128 v[8:11], v119
	ds_read_b128 v[106:109], v118 offset:12672
	ds_read_b128 v[110:113], v118 offset:14256
	;; [unrolled: 1-line block ×4, first 2 shown]
	ds_read_b128 v[4:7], v122
	ds_read_b128 v[0:3], v121
	ds_read_b128 v[128:131], v118 offset:15840
	ds_read_b128 v[132:135], v118 offset:17424
	;; [unrolled: 1-line block ×4, first 2 shown]
	v_mul_u32_u24_e32 v27, 0x630, v27
	s_waitcnt lgkmcnt(0)
	s_barrier
	s_movk_i32 s9, 0x630
	s_waitcnt vmcnt(11)
	v_mul_f64 v[144:145], v[92:93], v[30:31]
	v_mul_f64 v[30:31], v[90:91], v[30:31]
	v_fmac_f64_e32 v[144:145], v[90:91], v[28:29]
	v_fma_f64 v[90:91], v[92:93], v[28:29], -v[30:31]
	s_waitcnt vmcnt(10)
	v_mul_f64 v[92:93], v[100:101], v[34:35]
	v_mul_f64 v[28:29], v[98:99], v[34:35]
	v_fmac_f64_e32 v[92:93], v[98:99], v[32:33]
	v_fma_f64 v[34:35], v[100:101], v[32:33], -v[28:29]
	s_waitcnt vmcnt(9)
	v_mul_f64 v[98:99], v[96:97], v[38:39]
	v_mul_f64 v[28:29], v[94:95], v[38:39]
	v_fmac_f64_e32 v[98:99], v[94:95], v[36:37]
	v_fma_f64 v[94:95], v[96:97], v[36:37], -v[28:29]
	s_waitcnt vmcnt(8)
	v_mul_f64 v[28:29], v[102:103], v[42:43]
	v_mul_f64 v[96:97], v[104:105], v[42:43]
	v_fma_f64 v[42:43], v[104:105], v[40:41], -v[28:29]
	s_waitcnt vmcnt(7)
	v_mul_f64 v[28:29], v[106:107], v[46:47]
	v_fmac_f64_e32 v[96:97], v[102:103], v[40:41]
	v_fma_f64 v[102:103], v[108:109], v[44:45], -v[28:29]
	s_waitcnt vmcnt(6)
	v_mul_f64 v[28:29], v[114:115], v[50:51]
	v_mul_f64 v[100:101], v[108:109], v[46:47]
	;; [unrolled: 1-line block ×3, first 2 shown]
	v_fma_f64 v[50:51], v[116:117], v[48:49], -v[28:29]
	s_waitcnt vmcnt(5)
	v_mul_f64 v[28:29], v[110:111], v[54:55]
	v_fmac_f64_e32 v[100:101], v[106:107], v[44:45]
	v_mul_f64 v[106:107], v[112:113], v[54:55]
	v_fma_f64 v[108:109], v[112:113], v[52:53], -v[28:29]
	s_waitcnt vmcnt(4)
	v_mul_f64 v[28:29], v[124:125], v[58:59]
	v_fmac_f64_e32 v[106:107], v[110:111], v[52:53]
	v_mul_f64 v[110:111], v[126:127], v[58:59]
	v_fma_f64 v[58:59], v[126:127], v[56:57], -v[28:29]
	s_waitcnt vmcnt(3)
	v_mul_f64 v[28:29], v[128:129], v[62:63]
	v_fmac_f64_e32 v[104:105], v[114:115], v[48:49]
	v_fma_f64 v[114:115], v[130:131], v[60:61], -v[28:29]
	s_waitcnt vmcnt(2)
	v_mul_f64 v[28:29], v[136:137], v[80:81]
	v_mul_f64 v[116:117], v[138:139], v[80:81]
	v_fma_f64 v[80:81], v[138:139], v[78:79], -v[28:29]
	s_waitcnt vmcnt(1)
	v_mul_f64 v[28:29], v[132:133], v[84:85]
	v_mul_f64 v[112:113], v[130:131], v[62:63]
	v_fma_f64 v[126:127], v[134:135], v[82:83], -v[28:29]
	s_waitcnt vmcnt(0)
	v_mul_f64 v[28:29], v[140:141], v[88:89]
	v_add_f64 v[30:31], v[144:145], v[92:93]
	v_fmac_f64_e32 v[112:113], v[128:129], v[60:61]
	v_mul_f64 v[128:129], v[142:143], v[88:89]
	v_fma_f64 v[88:89], v[142:143], v[86:87], -v[28:29]
	v_add_f64 v[28:29], v[20:21], v[144:145]
	v_fmac_f64_e32 v[20:21], -0.5, v[30:31]
	v_add_f64 v[30:31], v[90:91], -v[34:35]
	v_fma_f64 v[32:33], s[2:3], v[30:31], v[20:21]
	v_fmac_f64_e32 v[20:21], s[6:7], v[30:31]
	v_add_f64 v[30:31], v[22:23], v[90:91]
	v_add_f64 v[30:31], v[30:31], v[34:35]
	;; [unrolled: 1-line block ×3, first 2 shown]
	v_fmac_f64_e32 v[22:23], -0.5, v[34:35]
	v_add_f64 v[36:37], v[144:145], -v[92:93]
	v_add_f64 v[38:39], v[98:99], v[96:97]
	v_fma_f64 v[34:35], s[6:7], v[36:37], v[22:23]
	v_fmac_f64_e32 v[22:23], s[2:3], v[36:37]
	v_add_f64 v[36:37], v[16:17], v[98:99]
	v_fmac_f64_e32 v[16:17], -0.5, v[38:39]
	v_add_f64 v[38:39], v[94:95], -v[42:43]
	v_fma_f64 v[40:41], s[2:3], v[38:39], v[16:17]
	v_fmac_f64_e32 v[16:17], s[6:7], v[38:39]
	v_add_f64 v[38:39], v[18:19], v[94:95]
	v_add_f64 v[38:39], v[38:39], v[42:43]
	;; [unrolled: 1-line block ×3, first 2 shown]
	v_fmac_f64_e32 v[18:19], -0.5, v[42:43]
	v_add_f64 v[44:45], v[98:99], -v[96:97]
	v_add_f64 v[46:47], v[100:101], v[104:105]
	v_fma_f64 v[42:43], s[6:7], v[44:45], v[18:19]
	v_fmac_f64_e32 v[18:19], s[2:3], v[44:45]
	v_add_f64 v[44:45], v[12:13], v[100:101]
	v_fmac_f64_e32 v[12:13], -0.5, v[46:47]
	v_add_f64 v[46:47], v[102:103], -v[50:51]
	v_fma_f64 v[48:49], s[2:3], v[46:47], v[12:13]
	v_fmac_f64_e32 v[12:13], s[6:7], v[46:47]
	v_add_f64 v[46:47], v[14:15], v[102:103]
	v_fmac_f64_e32 v[110:111], v[124:125], v[56:57]
	v_add_f64 v[46:47], v[46:47], v[50:51]
	v_add_f64 v[50:51], v[102:103], v[50:51]
	v_fmac_f64_e32 v[14:15], -0.5, v[50:51]
	v_add_f64 v[52:53], v[100:101], -v[104:105]
	v_add_f64 v[54:55], v[106:107], v[110:111]
	v_fma_f64 v[50:51], s[6:7], v[52:53], v[14:15]
	v_fmac_f64_e32 v[14:15], s[2:3], v[52:53]
	v_add_f64 v[52:53], v[8:9], v[106:107]
	v_fmac_f64_e32 v[8:9], -0.5, v[54:55]
	v_add_f64 v[54:55], v[108:109], -v[58:59]
	v_fma_f64 v[56:57], s[2:3], v[54:55], v[8:9]
	v_fmac_f64_e32 v[8:9], s[6:7], v[54:55]
	v_add_f64 v[54:55], v[10:11], v[108:109]
	v_fmac_f64_e32 v[116:117], v[136:137], v[78:79]
	v_add_f64 v[54:55], v[54:55], v[58:59]
	v_add_f64 v[58:59], v[108:109], v[58:59]
	v_fmac_f64_e32 v[10:11], -0.5, v[58:59]
	v_add_f64 v[60:61], v[106:107], -v[110:111]
	v_add_f64 v[62:63], v[112:113], v[116:117]
	v_fma_f64 v[58:59], s[6:7], v[60:61], v[10:11]
	v_fmac_f64_e32 v[10:11], s[2:3], v[60:61]
	v_add_f64 v[60:61], v[4:5], v[112:113]
	v_fmac_f64_e32 v[4:5], -0.5, v[62:63]
	v_add_f64 v[62:63], v[114:115], -v[80:81]
	v_mul_f64 v[124:125], v[134:135], v[84:85]
	v_fma_f64 v[78:79], s[2:3], v[62:63], v[4:5]
	v_fmac_f64_e32 v[4:5], s[6:7], v[62:63]
	v_add_f64 v[62:63], v[6:7], v[114:115]
	v_fmac_f64_e32 v[124:125], v[132:133], v[82:83]
	v_fmac_f64_e32 v[128:129], v[140:141], v[86:87]
	v_add_f64 v[62:63], v[62:63], v[80:81]
	v_add_f64 v[80:81], v[114:115], v[80:81]
	v_fmac_f64_e32 v[6:7], -0.5, v[80:81]
	v_add_f64 v[82:83], v[112:113], -v[116:117]
	v_add_f64 v[84:85], v[124:125], v[128:129]
	v_fma_f64 v[80:81], s[6:7], v[82:83], v[6:7]
	v_fmac_f64_e32 v[6:7], s[2:3], v[82:83]
	v_add_f64 v[82:83], v[0:1], v[124:125]
	v_fmac_f64_e32 v[0:1], -0.5, v[84:85]
	v_add_f64 v[84:85], v[126:127], -v[88:89]
	v_fma_f64 v[86:87], s[2:3], v[84:85], v[0:1]
	v_fmac_f64_e32 v[0:1], s[6:7], v[84:85]
	v_add_f64 v[84:85], v[2:3], v[126:127]
	v_add_f64 v[84:85], v[84:85], v[88:89]
	;; [unrolled: 1-line block ×3, first 2 shown]
	v_fmac_f64_e32 v[2:3], -0.5, v[88:89]
	v_add_f64 v[90:91], v[124:125], -v[128:129]
	v_fma_f64 v[88:89], s[6:7], v[90:91], v[2:3]
	v_fmac_f64_e32 v[2:3], s[2:3], v[90:91]
	v_lshlrev_b32_sdwa v90, v25, v123 dst_sel:DWORD dst_unused:UNUSED_PAD src0_sel:DWORD src1_sel:BYTE_0
	v_add_f64 v[28:29], v[28:29], v[92:93]
	v_add3_u32 v27, 0, v27, v90
	ds_write_b128 v27, v[28:31]
	ds_write_b128 v27, v[32:35] offset:528
	ds_write_b128 v27, v[20:23] offset:1056
	v_mul_u32_u24_e32 v20, 0x630, v146
	v_lshlrev_b32_sdwa v21, v25, v147 dst_sel:DWORD dst_unused:UNUSED_PAD src0_sel:DWORD src1_sel:BYTE_0
	v_add_f64 v[36:37], v[36:37], v[96:97]
	v_add3_u32 v20, 0, v20, v21
	ds_write_b128 v20, v[36:39]
	ds_write_b128 v20, v[40:43] offset:528
	ds_write_b128 v20, v[16:19] offset:1056
	v_perm_b32 v16, v149, v24, s8
	v_pk_mul_lo_u16 v16, v16, s9 op_sel_hi:[1,0]
	v_lshlrev_b32_e32 v18, 4, v148
	v_and_b32_e32 v17, 0xfff0, v16
	v_add_f64 v[44:45], v[44:45], v[104:105]
	v_add3_u32 v17, 0, v17, v18
	ds_write_b128 v17, v[44:47]
	ds_write_b128 v17, v[48:51] offset:528
	ds_write_b128 v17, v[12:15] offset:1056
	v_lshrrev_b32_e32 v12, 16, v16
	v_lshlrev_b32_e32 v13, 4, v150
	v_add_f64 v[52:53], v[52:53], v[110:111]
	v_add3_u32 v12, 0, v12, v13
	ds_write_b128 v12, v[52:55]
	ds_write_b128 v12, v[56:59] offset:528
	ds_write_b128 v12, v[8:11] offset:1056
	v_perm_b32 v8, v153, v151, s8
	v_pk_mul_lo_u16 v8, v8, s9 op_sel_hi:[1,0]
	v_lshlrev_b32_e32 v10, 4, v152
	v_and_b32_e32 v9, 0xfff0, v8
	v_add_f64 v[60:61], v[60:61], v[116:117]
	v_add3_u32 v9, 0, v9, v10
	ds_write_b128 v9, v[60:63]
	ds_write_b128 v9, v[78:81] offset:528
	ds_write_b128 v9, v[4:7] offset:1056
	v_lshrrev_b32_e32 v4, 16, v8
	v_lshlrev_b32_e32 v5, 4, v154
	v_add_f64 v[82:83], v[82:83], v[128:129]
	v_add3_u32 v4, 0, v4, v5
	ds_write_b128 v4, v[82:85]
	ds_write_b128 v4, v[86:89] offset:528
	ds_write_b128 v4, v[0:3] offset:1056
	v_lshlrev_b32_e32 v0, 1, v66
	v_mov_b32_e32 v1, v67
	s_mov_b32 s8, 0xa57f
	v_lshl_add_u64 v[24:25], v[0:1], 4, s[4:5]
	v_mul_u32_u24_sdwa v0, v70, s8 dst_sel:DWORD dst_unused:UNUSED_PAD src0_sel:WORD_0 src1_sel:DWORD
	v_lshrrev_b32_e32 v0, 22, v0
	v_mul_lo_u16_e32 v0, 0x63, v0
	v_sub_u16_e32 v27, v70, v0
	v_lshlrev_b32_e32 v0, 5, v27
	s_waitcnt lgkmcnt(0)
	s_barrier
	global_load_dwordx4 v[28:31], v[24:25], off offset:1408
	global_load_dwordx4 v[32:35], v[24:25], off offset:1424
	global_load_dwordx4 v[36:39], v0, s[4:5] offset:1408
	global_load_dwordx4 v[40:43], v0, s[4:5] offset:1424
	v_mul_u32_u24_sdwa v0, v72, s8 dst_sel:DWORD dst_unused:UNUSED_PAD src0_sel:WORD_0 src1_sel:DWORD
	v_lshrrev_b32_e32 v0, 22, v0
	v_mul_lo_u16_e32 v0, 0x63, v0
	v_sub_u16_e32 v123, v72, v0
	v_lshlrev_b32_e32 v0, 5, v123
	global_load_dwordx4 v[44:47], v0, s[4:5] offset:1408
	global_load_dwordx4 v[48:51], v0, s[4:5] offset:1424
	v_mul_u32_u24_sdwa v0, v74, s8 dst_sel:DWORD dst_unused:UNUSED_PAD src0_sel:WORD_0 src1_sel:DWORD
	v_lshrrev_b32_e32 v0, 22, v0
	v_mul_lo_u16_e32 v0, 0x63, v0
	v_sub_u16_e32 v138, v74, v0
	v_lshlrev_b32_e32 v0, 5, v138
	;; [unrolled: 7-line block ×3, first 2 shown]
	global_load_dwordx4 v[60:63], v0, s[4:5] offset:1408
	global_load_dwordx4 v[78:81], v0, s[4:5] offset:1424
	ds_read_b128 v[20:23], v118
	ds_read_b128 v[16:19], v118 offset:1584
	ds_read_b128 v[82:85], v118 offset:9504
	;; [unrolled: 1-line block ×5, first 2 shown]
	ds_read_b128 v[12:15], v120
	ds_read_b128 v[8:11], v119
	ds_read_b128 v[98:101], v118 offset:12672
	ds_read_b128 v[102:105], v118 offset:14256
	;; [unrolled: 1-line block ×4, first 2 shown]
	ds_read_b128 v[4:7], v122
	ds_read_b128 v[0:3], v121
	ds_read_b128 v[114:117], v118 offset:15840
	ds_read_b128 v[124:127], v118 offset:17424
	;; [unrolled: 1-line block ×4, first 2 shown]
	s_waitcnt lgkmcnt(0)
	s_barrier
	s_mov_b64 s[8:9], 0x11e0
	s_waitcnt vmcnt(9)
	v_mul_f64 v[136:137], v[84:85], v[30:31]
	v_fmac_f64_e32 v[136:137], v[82:83], v[28:29]
	v_mul_f64 v[82:83], v[82:83], v[30:31]
	v_fma_f64 v[82:83], v[84:85], v[28:29], -v[82:83]
	s_waitcnt vmcnt(8)
	v_mul_f64 v[84:85], v[92:93], v[34:35]
	v_fmac_f64_e32 v[84:85], v[90:91], v[32:33]
	v_mul_f64 v[90:91], v[90:91], v[34:35]
	v_fma_f64 v[90:91], v[92:93], v[32:33], -v[90:91]
	v_mul_f64 v[92:93], v[88:89], v[30:31]
	v_mul_f64 v[30:31], v[86:87], v[30:31]
	v_fmac_f64_e32 v[92:93], v[86:87], v[28:29]
	v_fma_f64 v[86:87], v[88:89], v[28:29], -v[30:31]
	v_mul_f64 v[88:89], v[96:97], v[34:35]
	v_mul_f64 v[28:29], v[94:95], v[34:35]
	v_fmac_f64_e32 v[88:89], v[94:95], v[32:33]
	v_fma_f64 v[94:95], v[96:97], v[32:33], -v[28:29]
	s_waitcnt vmcnt(7)
	v_mul_f64 v[96:97], v[100:101], v[38:39]
	v_mul_f64 v[28:29], v[98:99], v[38:39]
	v_fmac_f64_e32 v[96:97], v[98:99], v[36:37]
	v_fma_f64 v[98:99], v[100:101], v[36:37], -v[28:29]
	s_waitcnt vmcnt(6)
	;; [unrolled: 5-line block ×8, first 2 shown]
	v_mul_f64 v[126:127], v[134:135], v[80:81]
	v_mul_f64 v[28:29], v[132:133], v[80:81]
	v_add_f64 v[30:31], v[136:137], v[84:85]
	v_fmac_f64_e32 v[126:127], v[132:133], v[78:79]
	v_fma_f64 v[132:133], v[134:135], v[78:79], -v[28:29]
	v_add_f64 v[28:29], v[20:21], v[136:137]
	v_fmac_f64_e32 v[20:21], -0.5, v[30:31]
	v_add_f64 v[30:31], v[82:83], -v[90:91]
	v_add_f64 v[34:35], v[82:83], v[90:91]
	v_fma_f64 v[32:33], s[2:3], v[30:31], v[20:21]
	v_fmac_f64_e32 v[20:21], s[6:7], v[30:31]
	v_add_f64 v[30:31], v[22:23], v[82:83]
	v_fmac_f64_e32 v[22:23], -0.5, v[34:35]
	v_add_f64 v[36:37], v[136:137], -v[84:85]
	v_add_f64 v[38:39], v[92:93], v[88:89]
	v_fma_f64 v[34:35], s[6:7], v[36:37], v[22:23]
	v_fmac_f64_e32 v[22:23], s[2:3], v[36:37]
	;; [unrolled: 6-line block ×7, first 2 shown]
	v_add_f64 v[54:55], v[10:11], v[102:103]
	v_fmac_f64_e32 v[10:11], -0.5, v[58:59]
	v_add_f64 v[60:61], v[108:109], -v[104:105]
	v_add_f64 v[62:63], v[112:113], v[116:117]
	v_add_f64 v[28:29], v[28:29], v[84:85]
	;; [unrolled: 1-line block ×3, first 2 shown]
	v_fma_f64 v[58:59], s[6:7], v[60:61], v[10:11]
	v_fmac_f64_e32 v[10:11], s[2:3], v[60:61]
	v_add_f64 v[60:61], v[4:5], v[112:113]
	v_fmac_f64_e32 v[4:5], -0.5, v[62:63]
	v_add_f64 v[62:63], v[114:115], -v[128:129]
	v_add_f64 v[80:81], v[114:115], v[128:129]
	v_add_f64 v[36:37], v[36:37], v[88:89]
	;; [unrolled: 1-line block ×5, first 2 shown]
	v_fma_f64 v[78:79], s[2:3], v[62:63], v[4:5]
	v_fmac_f64_e32 v[4:5], s[6:7], v[62:63]
	v_add_f64 v[62:63], v[6:7], v[114:115]
	v_fmac_f64_e32 v[6:7], -0.5, v[80:81]
	v_add_f64 v[82:83], v[112:113], -v[116:117]
	v_add_f64 v[84:85], v[130:131], v[126:127]
	ds_write_b128 v118, v[28:31]
	ds_write_b128 v118, v[32:35] offset:1584
	ds_write_b128 v118, v[20:23] offset:3168
	;; [unrolled: 1-line block ×5, first 2 shown]
	v_lshl_add_u32 v16, v27, 4, 0
	v_add_f64 v[52:53], v[52:53], v[104:105]
	v_add_f64 v[54:55], v[54:55], v[110:111]
	v_fma_f64 v[80:81], s[6:7], v[82:83], v[6:7]
	v_fmac_f64_e32 v[6:7], s[2:3], v[82:83]
	v_add_f64 v[82:83], v[0:1], v[130:131]
	v_fmac_f64_e32 v[0:1], -0.5, v[84:85]
	v_add_f64 v[84:85], v[124:125], -v[132:133]
	v_add_f64 v[88:89], v[124:125], v[132:133]
	ds_write_b128 v16, v[44:47] offset:9504
	ds_write_b128 v16, v[48:51] offset:11088
	;; [unrolled: 1-line block ×3, first 2 shown]
	v_lshl_add_u32 v12, v123, 4, 0
	v_add_f64 v[60:61], v[60:61], v[116:117]
	v_add_f64 v[62:63], v[62:63], v[128:129]
	v_fma_f64 v[86:87], s[2:3], v[84:85], v[0:1]
	v_fmac_f64_e32 v[0:1], s[6:7], v[84:85]
	v_add_f64 v[84:85], v[2:3], v[124:125]
	v_fmac_f64_e32 v[2:3], -0.5, v[88:89]
	v_add_f64 v[90:91], v[130:131], -v[126:127]
	ds_write_b128 v12, v[52:55] offset:14256
	ds_write_b128 v12, v[56:59] offset:15840
	;; [unrolled: 1-line block ×3, first 2 shown]
	v_lshl_add_u32 v8, v138, 4, 0
	v_add_f64 v[82:83], v[82:83], v[126:127]
	v_add_f64 v[84:85], v[84:85], v[132:133]
	v_fma_f64 v[88:89], s[6:7], v[90:91], v[2:3]
	v_fmac_f64_e32 v[2:3], s[2:3], v[90:91]
	ds_write_b128 v8, v[60:63] offset:19008
	ds_write_b128 v8, v[78:81] offset:20592
	ds_write_b128 v8, v[4:7] offset:22176
	v_lshl_add_u32 v4, v139, 4, 0
	ds_write_b128 v4, v[82:85] offset:23760
	ds_write_b128 v4, v[86:89] offset:25344
	;; [unrolled: 1-line block ×3, first 2 shown]
	v_add_co_u32_e32 v2, vcc, s10, v24
	v_lshl_add_u64 v[0:1], v[24:25], 0, s[8:9]
	s_nop 0
	v_addc_co_u32_e32 v3, vcc, 0, v25, vcc
	s_waitcnt lgkmcnt(0)
	s_barrier
	global_load_dwordx4 v[28:31], v[2:3], off offset:480
	global_load_dwordx4 v[32:35], v[0:1], off offset:16
	v_lshlrev_b32_e32 v0, 1, v26
	v_mov_b32_e32 v1, v67
	v_lshl_add_u64 v[0:1], v[0:1], 4, s[4:5]
	v_lshl_add_u64 v[2:3], v[0:1], 0, s[8:9]
	v_add_co_u32_e32 v0, vcc, s10, v0
	s_nop 1
	v_addc_co_u32_e32 v1, vcc, 0, v1, vcc
	global_load_dwordx4 v[24:27], v[0:1], off offset:480
	global_load_dwordx4 v[36:39], v[2:3], off offset:16
	v_lshlrev_b32_e32 v0, 1, v70
	v_mov_b32_e32 v1, v67
	v_lshl_add_u64 v[0:1], v[0:1], 4, s[4:5]
	v_add_co_u32_e32 v2, vcc, s10, v0
	s_nop 1
	v_addc_co_u32_e32 v3, vcc, 0, v1, vcc
	global_load_dwordx4 v[40:43], v[2:3], off offset:480
	v_lshl_add_u64 v[0:1], v[0:1], 0, s[8:9]
	global_load_dwordx4 v[44:47], v[0:1], off offset:16
	ds_read_b128 v[20:23], v118
	ds_read_b128 v[16:19], v118 offset:1584
	ds_read_b128 v[48:51], v118 offset:9504
	;; [unrolled: 1-line block ×5, first 2 shown]
	ds_read_b128 v[12:15], v120
	ds_read_b128 v[8:11], v119
	ds_read_b128 v[78:81], v118 offset:12672
	ds_read_b128 v[82:85], v118 offset:14256
	;; [unrolled: 1-line block ×4, first 2 shown]
	ds_read_b128 v[4:7], v122
	ds_read_b128 v[0:3], v121
	ds_read_b128 v[94:97], v118 offset:15840
	ds_read_b128 v[98:101], v118 offset:17424
	;; [unrolled: 1-line block ×4, first 2 shown]
	s_waitcnt lgkmcnt(0)
	s_barrier
	s_waitcnt vmcnt(5)
	v_mul_f64 v[110:111], v[50:51], v[30:31]
	v_fmac_f64_e32 v[110:111], v[48:49], v[28:29]
	v_mul_f64 v[48:49], v[48:49], v[30:31]
	v_fma_f64 v[48:49], v[50:51], v[28:29], -v[48:49]
	s_waitcnt vmcnt(4)
	v_mul_f64 v[50:51], v[58:59], v[34:35]
	v_fmac_f64_e32 v[50:51], v[56:57], v[32:33]
	v_mul_f64 v[56:57], v[56:57], v[34:35]
	v_fma_f64 v[56:57], v[58:59], v[32:33], -v[56:57]
	;; [unrolled: 5-line block ×6, first 2 shown]
	v_mul_f64 v[88:89], v[84:85], v[30:31]
	v_mul_f64 v[30:31], v[82:83], v[30:31]
	v_fmac_f64_e32 v[88:89], v[82:83], v[28:29]
	v_fma_f64 v[82:83], v[84:85], v[28:29], -v[30:31]
	v_mul_f64 v[84:85], v[92:93], v[34:35]
	v_mul_f64 v[28:29], v[90:91], v[34:35]
	v_fmac_f64_e32 v[84:85], v[90:91], v[32:33]
	v_fma_f64 v[90:91], v[92:93], v[32:33], -v[28:29]
	;; [unrolled: 4-line block ×5, first 2 shown]
	v_mul_f64 v[100:101], v[108:109], v[46:47]
	v_mul_f64 v[24:25], v[106:107], v[46:47]
	v_add_f64 v[26:27], v[110:111], v[50:51]
	v_fmac_f64_e32 v[100:101], v[106:107], v[44:45]
	v_fma_f64 v[106:107], v[108:109], v[44:45], -v[24:25]
	v_add_f64 v[24:25], v[20:21], v[110:111]
	v_fmac_f64_e32 v[20:21], -0.5, v[26:27]
	v_add_f64 v[26:27], v[48:49], -v[56:57]
	v_add_f64 v[30:31], v[48:49], v[56:57]
	v_fma_f64 v[28:29], s[2:3], v[26:27], v[20:21]
	v_fmac_f64_e32 v[20:21], s[6:7], v[26:27]
	v_add_f64 v[26:27], v[22:23], v[48:49]
	v_fmac_f64_e32 v[22:23], -0.5, v[30:31]
	v_add_f64 v[32:33], v[110:111], -v[50:51]
	v_add_f64 v[34:35], v[58:59], v[54:55]
	v_fma_f64 v[30:31], s[6:7], v[32:33], v[22:23]
	v_fmac_f64_e32 v[22:23], s[2:3], v[32:33]
	;; [unrolled: 6-line block ×4, first 2 shown]
	v_add_f64 v[40:41], v[12:13], v[62:63]
	v_fmac_f64_e32 v[12:13], -0.5, v[42:43]
	v_add_f64 v[42:43], v[78:79], -v[86:87]
	v_add_f64 v[46:47], v[78:79], v[86:87]
	v_add_f64 v[24:25], v[24:25], v[50:51]
	v_fma_f64 v[44:45], s[2:3], v[42:43], v[12:13]
	v_fmac_f64_e32 v[12:13], s[6:7], v[42:43]
	v_add_f64 v[42:43], v[14:15], v[78:79]
	v_fmac_f64_e32 v[14:15], -0.5, v[46:47]
	v_add_f64 v[48:49], v[62:63], -v[80:81]
	v_add_f64 v[50:51], v[88:89], v[84:85]
	v_add_f64 v[32:33], v[32:33], v[54:55]
	v_fma_f64 v[46:47], s[6:7], v[48:49], v[14:15]
	v_fmac_f64_e32 v[14:15], s[2:3], v[48:49]
	;; [unrolled: 7-line block ×3, first 2 shown]
	v_add_f64 v[50:51], v[10:11], v[82:83]
	v_fmac_f64_e32 v[10:11], -0.5, v[54:55]
	v_add_f64 v[56:57], v[88:89], -v[84:85]
	v_add_f64 v[58:59], v[92:93], v[96:97]
	v_fma_f64 v[54:55], s[6:7], v[56:57], v[10:11]
	v_fmac_f64_e32 v[10:11], s[2:3], v[56:57]
	v_add_f64 v[56:57], v[4:5], v[92:93]
	v_fmac_f64_e32 v[4:5], -0.5, v[58:59]
	v_add_f64 v[58:59], v[94:95], -v[102:103]
	v_add_f64 v[62:63], v[94:95], v[102:103]
	v_add_f64 v[34:35], v[34:35], v[60:61]
	;; [unrolled: 1-line block ×3, first 2 shown]
	v_fma_f64 v[60:61], s[2:3], v[58:59], v[4:5]
	v_fmac_f64_e32 v[4:5], s[6:7], v[58:59]
	v_add_f64 v[58:59], v[6:7], v[94:95]
	v_fmac_f64_e32 v[6:7], -0.5, v[62:63]
	v_add_f64 v[78:79], v[92:93], -v[96:97]
	v_add_f64 v[80:81], v[104:105], v[100:101]
	v_add_f64 v[48:49], v[48:49], v[84:85]
	v_fma_f64 v[62:63], s[6:7], v[78:79], v[6:7]
	v_fmac_f64_e32 v[6:7], s[2:3], v[78:79]
	v_add_f64 v[78:79], v[0:1], v[104:105]
	v_fmac_f64_e32 v[0:1], -0.5, v[80:81]
	v_add_f64 v[80:81], v[98:99], -v[106:107]
	v_add_f64 v[84:85], v[98:99], v[106:107]
	v_add_f64 v[42:43], v[42:43], v[86:87]
	;; [unrolled: 7-line block ×3, first 2 shown]
	v_add_f64 v[58:59], v[58:59], v[102:103]
	v_add_f64 v[78:79], v[78:79], v[100:101]
	;; [unrolled: 1-line block ×3, first 2 shown]
	v_fma_f64 v[84:85], s[6:7], v[86:87], v[2:3]
	v_fmac_f64_e32 v[2:3], s[2:3], v[86:87]
	ds_write_b128 v118, v[24:27]
	ds_write_b128 v118, v[28:31] offset:4752
	ds_write_b128 v118, v[20:23] offset:9504
	;; [unrolled: 1-line block ×5, first 2 shown]
	ds_write_b128 v120, v[40:43]
	ds_write_b128 v120, v[44:47] offset:4752
	ds_write_b128 v120, v[12:15] offset:9504
	;; [unrolled: 1-line block ×11, first 2 shown]
	v_lshl_add_u64 v[0:1], v[68:69], 4, s[4:5]
	v_add_co_u32_e32 v8, vcc, s33, v0
	v_lshl_add_u64 v[28:29], v[66:67], 4, s[4:5]
	s_nop 0
	v_addc_co_u32_e32 v9, vcc, 0, v1, vcc
	v_add_co_u32_e32 v10, vcc, s33, v28
	s_waitcnt lgkmcnt(0)
	s_barrier
	v_addc_co_u32_e32 v11, vcc, 0, v29, vcc
	global_load_dwordx4 v[0:3], v[8:9], off offset:1792
	global_load_dwordx4 v[4:7], v[10:11], off offset:3376
	v_lshl_add_u64 v[8:9], v[70:71], 4, s[4:5]
	v_add_co_u32_e32 v16, vcc, s33, v8
	s_movk_i32 s2, 0x5000
	s_nop 0
	v_addc_co_u32_e32 v17, vcc, 0, v9, vcc
	v_lshl_add_u64 v[8:9], v[72:73], 4, s[4:5]
	v_add_co_u32_e32 v18, vcc, s33, v8
	s_nop 1
	v_addc_co_u32_e32 v19, vcc, 0, v9, vcc
	global_load_dwordx4 v[8:11], v[16:17], off offset:1792
	global_load_dwordx4 v[12:15], v[18:19], off offset:1792
	v_lshl_add_u64 v[16:17], v[74:75], 4, s[4:5]
	v_add_co_u32_e32 v24, vcc, s33, v16
	s_nop 1
	v_addc_co_u32_e32 v25, vcc, 0, v17, vcc
	v_lshl_add_u64 v[16:17], v[76:77], 4, s[4:5]
	v_add_co_u32_e32 v26, vcc, s33, v16
	s_nop 1
	v_addc_co_u32_e32 v27, vcc, 0, v17, vcc
	global_load_dwordx4 v[16:19], v[24:25], off offset:1792
	global_load_dwordx4 v[20:23], v[26:27], off offset:1792
	v_add_co_u32_e32 v24, vcc, s2, v28
	s_movk_i32 s2, 0x6000
	s_nop 0
	v_addc_co_u32_e32 v25, vcc, 0, v29, vcc
	global_load_dwordx4 v[24:27], v[24:25], off offset:3104
	v_add_co_u32_e32 v36, vcc, s2, v28
	s_nop 1
	v_addc_co_u32_e32 v37, vcc, 0, v29, vcc
	global_load_dwordx4 v[28:31], v[36:37], off offset:592
	global_load_dwordx4 v[32:35], v[36:37], off offset:2176
	ds_read_b128 v[36:39], v118 offset:14256
	ds_read_b128 v[40:43], v118
	ds_read_b128 v[44:47], v118 offset:1584
	ds_read_b128 v[48:51], v118 offset:15840
	;; [unrolled: 1-line block ×3, first 2 shown]
	ds_read_b128 v[56:59], v120
	ds_read_b128 v[60:63], v119
	ds_read_b128 v[68:71], v118 offset:19008
	ds_read_b128 v[72:75], v118 offset:20592
	ds_read_b128 v[76:79], v122
	ds_read_b128 v[80:83], v121
	ds_read_b128 v[84:87], v118 offset:22176
	ds_read_b128 v[88:91], v118 offset:23760
	;; [unrolled: 1-line block ×7, first 2 shown]
	s_waitcnt lgkmcnt(0)
	s_barrier
	s_waitcnt vmcnt(8)
	v_mul_f64 v[112:113], v[38:39], v[2:3]
	v_mul_f64 v[2:3], v[36:37], v[2:3]
	v_fmac_f64_e32 v[112:113], v[36:37], v[0:1]
	v_fma_f64 v[2:3], v[38:39], v[0:1], -v[2:3]
	s_waitcnt vmcnt(7)
	v_mul_f64 v[36:37], v[50:51], v[6:7]
	v_mul_f64 v[0:1], v[48:49], v[6:7]
	v_fmac_f64_e32 v[36:37], v[48:49], v[4:5]
	v_fma_f64 v[38:39], v[50:51], v[4:5], -v[0:1]
	v_add_f64 v[2:3], v[42:43], -v[2:3]
	v_fma_f64 v[6:7], v[42:43], 2.0, -v[2:3]
	s_waitcnt vmcnt(6)
	v_mul_f64 v[48:49], v[54:55], v[10:11]
	v_mul_f64 v[0:1], v[52:53], v[10:11]
	v_fmac_f64_e32 v[48:49], v[52:53], v[8:9]
	v_fma_f64 v[50:51], v[54:55], v[8:9], -v[0:1]
	s_waitcnt vmcnt(5)
	v_mul_f64 v[52:53], v[70:71], v[14:15]
	v_mul_f64 v[0:1], v[68:69], v[14:15]
	v_fmac_f64_e32 v[52:53], v[68:69], v[12:13]
	v_fma_f64 v[54:55], v[70:71], v[12:13], -v[0:1]
	v_add_f64 v[8:9], v[44:45], -v[36:37]
	v_add_f64 v[10:11], v[46:47], -v[38:39]
	v_fma_f64 v[12:13], v[44:45], 2.0, -v[8:9]
	v_fma_f64 v[14:15], v[46:47], 2.0, -v[10:11]
	s_waitcnt vmcnt(4)
	v_mul_f64 v[68:69], v[74:75], v[18:19]
	v_mul_f64 v[0:1], v[72:73], v[18:19]
	v_fmac_f64_e32 v[68:69], v[72:73], v[16:17]
	v_fma_f64 v[70:71], v[74:75], v[16:17], -v[0:1]
	s_waitcnt vmcnt(3)
	v_mul_f64 v[72:73], v[86:87], v[22:23]
	v_mul_f64 v[0:1], v[84:85], v[22:23]
	v_fmac_f64_e32 v[72:73], v[84:85], v[20:21]
	v_fma_f64 v[74:75], v[86:87], v[20:21], -v[0:1]
	;; [unrolled: 5-line block ×5, first 2 shown]
	v_add_f64 v[0:1], v[40:41], -v[112:113]
	v_add_f64 v[16:17], v[56:57], -v[48:49]
	;; [unrolled: 1-line block ×3, first 2 shown]
	v_fma_f64 v[4:5], v[40:41], 2.0, -v[0:1]
	v_fma_f64 v[20:21], v[56:57], 2.0, -v[16:17]
	;; [unrolled: 1-line block ×3, first 2 shown]
	v_add_f64 v[24:25], v[60:61], -v[52:53]
	v_add_f64 v[26:27], v[62:63], -v[54:55]
	;; [unrolled: 1-line block ×12, first 2 shown]
	v_fma_f64 v[28:29], v[60:61], 2.0, -v[24:25]
	v_fma_f64 v[30:31], v[62:63], 2.0, -v[26:27]
	;; [unrolled: 1-line block ×12, first 2 shown]
	ds_write_b128 v118, v[4:7]
	ds_write_b128 v118, v[0:3] offset:14256
	ds_write_b128 v118, v[12:15] offset:1584
	ds_write_b128 v118, v[8:11] offset:15840
	ds_write_b128 v120, v[20:23]
	ds_write_b128 v120, v[16:19] offset:14256
	ds_write_b128 v119, v[28:31]
	ds_write_b128 v119, v[24:27] offset:14256
	;; [unrolled: 2-line block ×4, first 2 shown]
	ds_write_b128 v118, v[52:55] offset:9504
	ds_write_b128 v118, v[48:51] offset:23760
	ds_write_b128 v118, v[60:63] offset:11088
	ds_write_b128 v118, v[56:59] offset:25344
	ds_write_b128 v118, v[72:75] offset:12672
	ds_write_b128 v118, v[68:71] offset:26928
	s_waitcnt lgkmcnt(0)
	s_barrier
	s_and_saveexec_b64 s[2:3], s[0:1]
	s_cbranch_execz .LBB0_21
; %bb.20:
	v_lshl_add_u32 v12, v66, 4, 0
	ds_read_b128 v[0:3], v12
	ds_read_b128 v[4:7], v12 offset:1584
	v_mov_b32_e32 v67, 0
	v_add_u32_e32 v8, 0x63, v66
	v_lshl_add_u64 v[10:11], v[66:67], 4, v[64:65]
	v_mov_b32_e32 v9, v67
	s_waitcnt lgkmcnt(1)
	global_store_dwordx4 v[10:11], v[0:3], off
	s_nop 1
	v_lshl_add_u64 v[0:1], v[8:9], 4, v[64:65]
	s_waitcnt lgkmcnt(0)
	global_store_dwordx4 v[0:1], v[4:7], off
	ds_read_b128 v[0:3], v12 offset:3168
	s_nop 0
	v_add_u32_e32 v4, 0xc6, v66
	v_mov_b32_e32 v5, v67
	v_lshl_add_u64 v[8:9], v[4:5], 4, v[64:65]
	ds_read_b128 v[4:7], v12 offset:4752
	s_waitcnt lgkmcnt(1)
	global_store_dwordx4 v[8:9], v[0:3], off
	s_nop 1
	v_add_u32_e32 v0, 0x129, v66
	v_mov_b32_e32 v1, v67
	v_lshl_add_u64 v[0:1], v[0:1], 4, v[64:65]
	s_waitcnt lgkmcnt(0)
	global_store_dwordx4 v[0:1], v[4:7], off
	ds_read_b128 v[0:3], v12 offset:6336
	s_nop 0
	v_add_u32_e32 v4, 0x18c, v66
	v_mov_b32_e32 v5, v67
	v_lshl_add_u64 v[8:9], v[4:5], 4, v[64:65]
	ds_read_b128 v[4:7], v12 offset:7920
	s_waitcnt lgkmcnt(1)
	global_store_dwordx4 v[8:9], v[0:3], off
	s_nop 1
	v_add_u32_e32 v0, 0x1ef, v66
	v_mov_b32_e32 v1, v67
	;; [unrolled: 14-line block ×6, first 2 shown]
	v_lshl_add_u64 v[0:1], v[0:1], 4, v[64:65]
	s_waitcnt lgkmcnt(0)
	global_store_dwordx4 v[0:1], v[4:7], off
	ds_read_b128 v[0:3], v12 offset:22176
	s_nop 0
	v_add_u32_e32 v4, 0x56a, v66
	v_mov_b32_e32 v5, v67
	v_lshl_add_u64 v[8:9], v[4:5], 4, v[64:65]
	ds_read_b128 v[4:7], v12 offset:23760
	s_waitcnt lgkmcnt(1)
	global_store_dwordx4 v[8:9], v[0:3], off
	v_add_u32_e32 v8, 0x630, v66
	v_mov_b32_e32 v9, v67
	v_add_u32_e32 v0, 0x5cd, v66
	v_mov_b32_e32 v1, v67
	v_lshl_add_u64 v[0:1], v[0:1], 4, v[64:65]
	s_waitcnt lgkmcnt(0)
	global_store_dwordx4 v[0:1], v[4:7], off
	ds_read_b128 v[0:3], v12 offset:25344
	ds_read_b128 v[4:7], v12 offset:26928
	v_lshl_add_u64 v[8:9], v[8:9], 4, v[64:65]
	v_add_u32_e32 v66, 0x693, v66
	s_waitcnt lgkmcnt(1)
	global_store_dwordx4 v[8:9], v[0:3], off
	s_nop 1
	v_lshl_add_u64 v[0:1], v[66:67], 4, v[64:65]
	s_waitcnt lgkmcnt(0)
	global_store_dwordx4 v[0:1], v[4:7], off
.LBB0_21:
	s_endpgm
	.section	.rodata,"a",@progbits
	.p2align	6, 0x0
	.amdhsa_kernel fft_rtc_back_len1782_factors_11_3_3_3_3_2_wgs_99_tpt_99_halfLds_dp_ip_CI_unitstride_sbrr_C2R_dirReg
		.amdhsa_group_segment_fixed_size 0
		.amdhsa_private_segment_fixed_size 0
		.amdhsa_kernarg_size 88
		.amdhsa_user_sgpr_count 2
		.amdhsa_user_sgpr_dispatch_ptr 0
		.amdhsa_user_sgpr_queue_ptr 0
		.amdhsa_user_sgpr_kernarg_segment_ptr 1
		.amdhsa_user_sgpr_dispatch_id 0
		.amdhsa_user_sgpr_kernarg_preload_length 0
		.amdhsa_user_sgpr_kernarg_preload_offset 0
		.amdhsa_user_sgpr_private_segment_size 0
		.amdhsa_uses_dynamic_stack 0
		.amdhsa_enable_private_segment 0
		.amdhsa_system_sgpr_workgroup_id_x 1
		.amdhsa_system_sgpr_workgroup_id_y 0
		.amdhsa_system_sgpr_workgroup_id_z 0
		.amdhsa_system_sgpr_workgroup_info 0
		.amdhsa_system_vgpr_workitem_id 0
		.amdhsa_next_free_vgpr 161
		.amdhsa_next_free_sgpr 36
		.amdhsa_accum_offset 164
		.amdhsa_reserve_vcc 1
		.amdhsa_float_round_mode_32 0
		.amdhsa_float_round_mode_16_64 0
		.amdhsa_float_denorm_mode_32 3
		.amdhsa_float_denorm_mode_16_64 3
		.amdhsa_dx10_clamp 1
		.amdhsa_ieee_mode 1
		.amdhsa_fp16_overflow 0
		.amdhsa_tg_split 0
		.amdhsa_exception_fp_ieee_invalid_op 0
		.amdhsa_exception_fp_denorm_src 0
		.amdhsa_exception_fp_ieee_div_zero 0
		.amdhsa_exception_fp_ieee_overflow 0
		.amdhsa_exception_fp_ieee_underflow 0
		.amdhsa_exception_fp_ieee_inexact 0
		.amdhsa_exception_int_div_zero 0
	.end_amdhsa_kernel
	.text
.Lfunc_end0:
	.size	fft_rtc_back_len1782_factors_11_3_3_3_3_2_wgs_99_tpt_99_halfLds_dp_ip_CI_unitstride_sbrr_C2R_dirReg, .Lfunc_end0-fft_rtc_back_len1782_factors_11_3_3_3_3_2_wgs_99_tpt_99_halfLds_dp_ip_CI_unitstride_sbrr_C2R_dirReg
                                        ; -- End function
	.section	.AMDGPU.csdata,"",@progbits
; Kernel info:
; codeLenInByte = 16584
; NumSgprs: 42
; NumVgprs: 161
; NumAgprs: 0
; TotalNumVgprs: 161
; ScratchSize: 0
; MemoryBound: 0
; FloatMode: 240
; IeeeMode: 1
; LDSByteSize: 0 bytes/workgroup (compile time only)
; SGPRBlocks: 5
; VGPRBlocks: 20
; NumSGPRsForWavesPerEU: 42
; NumVGPRsForWavesPerEU: 161
; AccumOffset: 164
; Occupancy: 3
; WaveLimiterHint : 1
; COMPUTE_PGM_RSRC2:SCRATCH_EN: 0
; COMPUTE_PGM_RSRC2:USER_SGPR: 2
; COMPUTE_PGM_RSRC2:TRAP_HANDLER: 0
; COMPUTE_PGM_RSRC2:TGID_X_EN: 1
; COMPUTE_PGM_RSRC2:TGID_Y_EN: 0
; COMPUTE_PGM_RSRC2:TGID_Z_EN: 0
; COMPUTE_PGM_RSRC2:TIDIG_COMP_CNT: 0
; COMPUTE_PGM_RSRC3_GFX90A:ACCUM_OFFSET: 40
; COMPUTE_PGM_RSRC3_GFX90A:TG_SPLIT: 0
	.text
	.p2alignl 6, 3212836864
	.fill 256, 4, 3212836864
	.type	__hip_cuid_c67abf7e85b0f246,@object ; @__hip_cuid_c67abf7e85b0f246
	.section	.bss,"aw",@nobits
	.globl	__hip_cuid_c67abf7e85b0f246
__hip_cuid_c67abf7e85b0f246:
	.byte	0                               ; 0x0
	.size	__hip_cuid_c67abf7e85b0f246, 1

	.ident	"AMD clang version 19.0.0git (https://github.com/RadeonOpenCompute/llvm-project roc-6.4.0 25133 c7fe45cf4b819c5991fe208aaa96edf142730f1d)"
	.section	".note.GNU-stack","",@progbits
	.addrsig
	.addrsig_sym __hip_cuid_c67abf7e85b0f246
	.amdgpu_metadata
---
amdhsa.kernels:
  - .agpr_count:     0
    .args:
      - .actual_access:  read_only
        .address_space:  global
        .offset:         0
        .size:           8
        .value_kind:     global_buffer
      - .offset:         8
        .size:           8
        .value_kind:     by_value
      - .actual_access:  read_only
        .address_space:  global
        .offset:         16
        .size:           8
        .value_kind:     global_buffer
      - .actual_access:  read_only
        .address_space:  global
        .offset:         24
        .size:           8
        .value_kind:     global_buffer
      - .offset:         32
        .size:           8
        .value_kind:     by_value
      - .actual_access:  read_only
        .address_space:  global
        .offset:         40
        .size:           8
        .value_kind:     global_buffer
      - .actual_access:  read_only
        .address_space:  global
        .offset:         48
        .size:           8
        .value_kind:     global_buffer
      - .offset:         56
        .size:           4
        .value_kind:     by_value
      - .actual_access:  read_only
        .address_space:  global
        .offset:         64
        .size:           8
        .value_kind:     global_buffer
      - .actual_access:  read_only
        .address_space:  global
        .offset:         72
        .size:           8
        .value_kind:     global_buffer
      - .address_space:  global
        .offset:         80
        .size:           8
        .value_kind:     global_buffer
    .group_segment_fixed_size: 0
    .kernarg_segment_align: 8
    .kernarg_segment_size: 88
    .language:       OpenCL C
    .language_version:
      - 2
      - 0
    .max_flat_workgroup_size: 99
    .name:           fft_rtc_back_len1782_factors_11_3_3_3_3_2_wgs_99_tpt_99_halfLds_dp_ip_CI_unitstride_sbrr_C2R_dirReg
    .private_segment_fixed_size: 0
    .sgpr_count:     42
    .sgpr_spill_count: 0
    .symbol:         fft_rtc_back_len1782_factors_11_3_3_3_3_2_wgs_99_tpt_99_halfLds_dp_ip_CI_unitstride_sbrr_C2R_dirReg.kd
    .uniform_work_group_size: 1
    .uses_dynamic_stack: false
    .vgpr_count:     161
    .vgpr_spill_count: 0
    .wavefront_size: 64
amdhsa.target:   amdgcn-amd-amdhsa--gfx950
amdhsa.version:
  - 1
  - 2
...

	.end_amdgpu_metadata
